;; amdgpu-corpus repo=ROCm/rocm-examples kind=compiled arch=gfx1250 opt=O3
	.amdgcn_target "amdgcn-amd-amdhsa--gfx1250"
	.amdhsa_code_object_version 6
	.text
	.protected	_Z5emptyiPd             ; -- Begin function _Z5emptyiPd
	.globl	_Z5emptyiPd
	.p2align	8
	.type	_Z5emptyiPd,@function
_Z5emptyiPd:                            ; @_Z5emptyiPd
; %bb.0:
	s_endpgm
	.section	.rodata,"a",@progbits
	.p2align	6, 0x0
	.amdhsa_kernel _Z5emptyiPd
		.amdhsa_group_segment_fixed_size 0
		.amdhsa_private_segment_fixed_size 0
		.amdhsa_kernarg_size 16
		.amdhsa_user_sgpr_count 2
		.amdhsa_user_sgpr_dispatch_ptr 0
		.amdhsa_user_sgpr_queue_ptr 0
		.amdhsa_user_sgpr_kernarg_segment_ptr 1
		.amdhsa_user_sgpr_dispatch_id 0
		.amdhsa_user_sgpr_kernarg_preload_length 0
		.amdhsa_user_sgpr_kernarg_preload_offset 0
		.amdhsa_user_sgpr_private_segment_size 0
		.amdhsa_wavefront_size32 1
		.amdhsa_uses_dynamic_stack 0
		.amdhsa_enable_private_segment 0
		.amdhsa_system_sgpr_workgroup_id_x 1
		.amdhsa_system_sgpr_workgroup_id_y 0
		.amdhsa_system_sgpr_workgroup_id_z 0
		.amdhsa_system_sgpr_workgroup_info 0
		.amdhsa_system_vgpr_workitem_id 0
		.amdhsa_next_free_vgpr 1
		.amdhsa_next_free_sgpr 1
		.amdhsa_named_barrier_count 0
		.amdhsa_reserve_vcc 0
		.amdhsa_float_round_mode_32 0
		.amdhsa_float_round_mode_16_64 0
		.amdhsa_float_denorm_mode_32 3
		.amdhsa_float_denorm_mode_16_64 3
		.amdhsa_fp16_overflow 0
		.amdhsa_memory_ordered 1
		.amdhsa_forward_progress 1
		.amdhsa_inst_pref_size 1
		.amdhsa_round_robin_scheduling 0
		.amdhsa_exception_fp_ieee_invalid_op 0
		.amdhsa_exception_fp_denorm_src 0
		.amdhsa_exception_fp_ieee_div_zero 0
		.amdhsa_exception_fp_ieee_overflow 0
		.amdhsa_exception_fp_ieee_underflow 0
		.amdhsa_exception_fp_ieee_inexact 0
		.amdhsa_exception_int_div_zero 0
	.end_amdhsa_kernel
	.text
.Lfunc_end0:
	.size	_Z5emptyiPd, .Lfunc_end0-_Z5emptyiPd
                                        ; -- End function
	.set _Z5emptyiPd.num_vgpr, 0
	.set _Z5emptyiPd.num_agpr, 0
	.set _Z5emptyiPd.numbered_sgpr, 0
	.set _Z5emptyiPd.num_named_barrier, 0
	.set _Z5emptyiPd.private_seg_size, 0
	.set _Z5emptyiPd.uses_vcc, 0
	.set _Z5emptyiPd.uses_flat_scratch, 0
	.set _Z5emptyiPd.has_dyn_sized_stack, 0
	.set _Z5emptyiPd.has_recursion, 0
	.set _Z5emptyiPd.has_indirect_call, 0
	.section	.AMDGPU.csdata,"",@progbits
; Kernel info:
; codeLenInByte = 4
; TotalNumSgprs: 0
; NumVgprs: 0
; ScratchSize: 0
; MemoryBound: 0
; FloatMode: 240
; IeeeMode: 1
; LDSByteSize: 0 bytes/workgroup (compile time only)
; SGPRBlocks: 0
; VGPRBlocks: 0
; NumSGPRsForWavesPerEU: 1
; NumVGPRsForWavesPerEU: 1
; NamedBarCnt: 0
; Occupancy: 16
; WaveLimiterHint : 0
; COMPUTE_PGM_RSRC2:SCRATCH_EN: 0
; COMPUTE_PGM_RSRC2:USER_SGPR: 2
; COMPUTE_PGM_RSRC2:TRAP_HANDLER: 0
; COMPUTE_PGM_RSRC2:TGID_X_EN: 1
; COMPUTE_PGM_RSRC2:TGID_Y_EN: 0
; COMPUTE_PGM_RSRC2:TGID_Z_EN: 0
; COMPUTE_PGM_RSRC2:TIDIG_COMP_CNT: 0
	.text
	.protected	_Z9vgprboundiPd         ; -- Begin function _Z9vgprboundiPd
	.globl	_Z9vgprboundiPd
	.p2align	8
	.type	_Z9vgprboundiPd,@function
_Z9vgprboundiPd:                        ; @_Z9vgprboundiPd
; %bb.0:
	s_clause 0x1
	s_load_b64 s[2:3], s[0:1], 0x8
	s_load_b32 s16, s[0:1], 0x0
	v_mov_b32_e32 v36, 0
	v_mov_b64_e32 v[38:39], 0x3fba6564968915a9
	v_mov_b64_e32 v[40:41], 0x3e928af3fca7ab0c
	;; [unrolled: 1-line block ×4, first 2 shown]
	s_mov_b64 s[6:7], 0x3fe5555555555555
	s_mov_b64 s[8:9], 0x3fe62e42fefa39ef
	;; [unrolled: 1-line block ×5, first 2 shown]
	s_mov_b32 s17, 0
                                        ; implicit-def: $vgpr46_vgpr47
                                        ; implicit-def: $vgpr46_vgpr47
	;; [unrolled: 1-line block ×22, first 2 shown]
	s_wait_kmcnt 0x0
	global_load_b64 v[34:35], v0, s[2:3] scale_offset
	v_mul_lo_u32 v1, s16, v0
	s_wait_xcnt 0x0
	v_lshlrev_b32_e32 v0, 3, v0
	s_delay_alu instid0(VALU_DEP_2) | instskip(SKIP_1) | instid1(VALU_DEP_1)
	v_cvt_f64_u32_e32 v[2:3], v1
	v_mov_b32_e32 v1, v36
	v_add_nc_u64_e32 v[0:1], s[2:3], v[0:1]
	s_delay_alu instid0(VALU_DEP_3)
	v_mov_b64_e32 v[4:5], v[2:3]
	v_mov_b64_e32 v[6:7], v[2:3]
	v_mov_b64_e32 v[8:9], v[2:3]
	v_mov_b64_e32 v[10:11], v[2:3]
	v_mov_b64_e32 v[12:13], v[2:3]
	v_mov_b64_e32 v[14:15], v[2:3]
	v_mov_b64_e32 v[16:17], v[2:3]
	v_mov_b64_e32 v[18:19], v[2:3]
	v_mov_b64_e32 v[20:21], v[2:3]
	v_mov_b64_e32 v[22:23], v[2:3]
	v_mov_b64_e32 v[24:25], v[2:3]
	v_mov_b64_e32 v[26:27], v[2:3]
	v_mov_b64_e32 v[28:29], v[2:3]
	v_mov_b64_e32 v[30:31], v[2:3]
	v_mov_b64_e32 v[32:33], v[2:3]
	s_branch .LBB1_2
.LBB1_1:                                ;   in Loop: Header=BB1_2 Depth=1
	s_or_b32 exec_lo, exec_lo, s0
	v_cmp_class_f64_e64 s0, v[46:47], 0x1f8
	v_lshlrev_b32_e32 v46, 30, v52
	v_mul_f64_e32 v[54:55], v[48:49], v[48:49]
	s_add_co_i32 s17, s17, 1
	s_mov_b32 m0, s18
	s_cmp_eq_u32 s17, 0x64
	v_xor_b32_e32 v46, v46, v47
	v_and_b32_e32 v37, 1, v52
	s_delay_alu instid0(VALU_DEP_1) | instskip(SKIP_4) | instid1(VALU_DEP_1)
	v_cmp_eq_u32_e32 vcc_lo, 0, v37
	v_mul_f64_e32 v[60:61], 0.5, v[50:51]
	v_mul_f64_e32 v[56:57], 0.5, v[54:55]
	v_mul_f64_e64 v[62:63], v[48:49], -v[54:55]
	v_fmamk_f64 v[66:67], v[54:55], 0x3de5e0b2f9a43bb8, v[44:45]
	v_fmaak_f64 v[66:67], v[54:55], v[66:67], 0x3ec71de3796cde01
	s_delay_alu instid0(VALU_DEP_1) | instskip(NEXT) | instid1(VALU_DEP_1)
	v_fmaak_f64 v[66:67], v[54:55], v[66:67], 0xbf2a01a019e83e5c
	v_fmaak_f64 v[66:67], v[54:55], v[66:67], 0x3f81111111110bb3
	v_add_f64_e64 v[58:59], -v[56:57], 1.0
	s_delay_alu instid0(VALU_DEP_2) | instskip(SKIP_1) | instid1(VALU_DEP_3)
	v_fmac_f64_e32 v[60:61], v[62:63], v[66:67]
	v_mul_f64_e32 v[66:67], v[54:55], v[54:55]
	v_add_f64_e64 v[64:65], -v[58:59], 1.0
	s_delay_alu instid0(VALU_DEP_3) | instskip(NEXT) | instid1(VALU_DEP_2)
	v_fma_f64 v[60:61], v[54:55], v[60:61], -v[50:51]
	v_add_f64_e64 v[56:57], v[64:65], -v[56:57]
	v_fmamk_f64 v[64:65], v[54:55], 0xbda907db46cc5e42, v[42:43]
	s_delay_alu instid0(VALU_DEP_3) | instskip(NEXT) | instid1(VALU_DEP_3)
	v_fmac_f64_e32 v[60:61], 0xbfc5555555555555, v[62:63]
	v_fma_f64 v[50:51], v[48:49], -v[50:51], v[56:57]
	s_delay_alu instid0(VALU_DEP_3) | instskip(NEXT) | instid1(VALU_DEP_3)
	v_fmaak_f64 v[56:57], v[54:55], v[64:65], 0xbe927e4fa17f65f6
	v_add_f64_e64 v[48:49], v[48:49], -v[60:61]
	s_delay_alu instid0(VALU_DEP_2) | instskip(NEXT) | instid1(VALU_DEP_1)
	v_fmaak_f64 v[56:57], v[54:55], v[56:57], 0x3efa01a019f4ec90
	v_fmaak_f64 v[56:57], v[54:55], v[56:57], 0xbf56c16c16c16967
	s_delay_alu instid0(VALU_DEP_1) | instskip(NEXT) | instid1(VALU_DEP_1)
	v_fmaak_f64 v[54:55], v[54:55], v[56:57], 0x3fa5555555555555
	v_fmac_f64_e32 v[50:51], v[66:67], v[54:55]
	s_delay_alu instid0(VALU_DEP_1) | instskip(NEXT) | instid1(VALU_DEP_1)
	v_add_f64_e32 v[50:51], v[58:59], v[50:51]
	v_dual_cndmask_b32 v47, v51, v49, vcc_lo :: v_dual_cndmask_b32 v37, v50, v48, vcc_lo
	s_delay_alu instid0(VALU_DEP_1) | instskip(NEXT) | instid1(VALU_DEP_2)
	v_bitop3_b32 v47, v47, v46, 0x80000000 bitop3:0x78
	v_cndmask_b32_e64 v46, 0, v37, s0
	s_delay_alu instid0(VALU_DEP_2) | instskip(NEXT) | instid1(VALU_DEP_1)
	v_cndmask_b32_e64 v47, 0x7ff80000, v47, s0
	v_add_f64_e32 v[34:35], v[34:35], v[46:47]
	s_delay_alu instid0(VALU_DEP_1) | instskip(NEXT) | instid1(VALU_DEP_2)
	v_movreld_b32_e32 v2, v34
	v_movreld_b32_e32 v3, v35
	s_cbranch_scc1 .LBB1_6
.LBB1_2:                                ; =>This Inner Loop Header: Depth=1
	s_lshl_b32 s0, s17, 2
	s_delay_alu instid0(SALU_CYCLE_1) | instskip(NEXT) | instid1(SALU_CYCLE_1)
	s_and_b32 s0, s0, 0x7c
	v_mov_b32_e32 v37, s0
	s_add_co_i32 s0, s17, -1
	s_delay_alu instid0(SALU_CYCLE_1) | instskip(NEXT) | instid1(SALU_CYCLE_1)
	s_bfe_i32 s1, s0, 0x80000
	s_bfe_u32 s1, s1, 0x4000b
	s_wait_loadcnt 0x0
	ds_bpermute_b32 v46, v37, v34
	ds_bpermute_b32 v47, v37, v35
	s_add_co_i32 s1, s0, s1
	s_delay_alu instid0(SALU_CYCLE_1) | instskip(NEXT) | instid1(SALU_CYCLE_1)
	s_and_b32 s1, s1, 0xf0
	s_sub_co_i32 s0, s0, s1
	s_delay_alu instid0(SALU_CYCLE_1) | instskip(NEXT) | instid1(SALU_CYCLE_1)
	s_sext_i32_i8 s0, s0
	s_lshl_b32 m0, s0, 1
	s_and_b32 s0, s17, 15
	v_movrels_b32_e32 v49, v3
	v_movrels_b32_e32 v48, v2
	s_lshl_b32 s18, s0, 1
	s_delay_alu instid0(SALU_CYCLE_1) | instskip(SKIP_4) | instid1(VALU_DEP_2)
	s_mov_b32 m0, s18
	v_movrels_b32_e32 v37, v3
	s_wait_dscnt 0x0
	v_mul_f64_e32 v[46:47], v[48:49], v[46:47]
	v_movrels_b32_e32 v48, v2
	v_cmp_neq_f64_e32 vcc_lo, 1.0, v[46:47]
	v_cndmask_b32_e32 v49, 0x3ff00000, v37, vcc_lo
	s_delay_alu instid0(VALU_DEP_3) | instskip(NEXT) | instid1(VALU_DEP_1)
	v_cndmask_b32_e32 v48, 0, v48, vcc_lo
	v_cmp_neq_f64_e32 vcc_lo, 0, v[48:49]
	v_cndmask_b32_e32 v47, 0x3ff00000, v47, vcc_lo
	v_cndmask_b32_e32 v46, 0, v46, vcc_lo
	v_cmp_neq_f64_e64 s4, v[48:49], |v[48:49]|
	v_cmp_gt_f64_e64 s2, 0, v[48:49]
	s_delay_alu instid0(VALU_DEP_3) | instskip(SKIP_3) | instid1(VALU_DEP_4)
	v_frexp_mant_f64_e64 v[50:51], |v[46:47]|
	v_cmp_lt_f64_e64 s5, |v[46:47]|, 1.0
	v_cmp_eq_f64_e64 s3, 0, v[46:47]
	v_cmp_class_f64_e64 s19, v[46:47], 0x204
	v_cmp_gt_f64_e32 vcc_lo, s[6:7], v[50:51]
	s_xor_b32 s4, s4, s5
	v_cmp_neq_f64_e64 s5, |v[46:47]|, 1.0
	v_cndmask_b32_e64 v37, 0, 1, vcc_lo
	s_delay_alu instid0(VALU_DEP_1) | instskip(SKIP_1) | instid1(VALU_DEP_2)
	v_ldexp_f64 v[50:51], v[50:51], v37
	v_frexp_exp_i32_f64_e32 v37, v[46:47]
	v_add_f64_e32 v[52:53], 1.0, v[50:51]
	v_add_f64_e32 v[58:59], -1.0, v[50:51]
	s_delay_alu instid0(VALU_DEP_3) | instskip(NEXT) | instid1(VALU_DEP_3)
	v_subrev_co_ci_u32_e64 v37, null, 0, v37, vcc_lo
	v_rcp_f64_e32 v[54:55], v[52:53]
	v_add_f64_e32 v[60:61], -1.0, v[52:53]
	s_delay_alu instid0(VALU_DEP_1) | instskip(NEXT) | instid1(TRANS32_DEP_1)
	v_add_f64_e64 v[50:51], v[50:51], -v[60:61]
	v_fma_f64 v[56:57], -v[52:53], v[54:55], 1.0
	s_delay_alu instid0(VALU_DEP_1) | instskip(NEXT) | instid1(VALU_DEP_1)
	v_fmac_f64_e32 v[54:55], v[56:57], v[54:55]
	v_fma_f64 v[56:57], -v[52:53], v[54:55], 1.0
	s_delay_alu instid0(VALU_DEP_1) | instskip(NEXT) | instid1(VALU_DEP_1)
	v_fmac_f64_e32 v[54:55], v[56:57], v[54:55]
	v_mul_f64_e32 v[56:57], v[58:59], v[54:55]
	s_delay_alu instid0(VALU_DEP_1) | instskip(NEXT) | instid1(VALU_DEP_1)
	v_mul_f64_e32 v[62:63], v[52:53], v[56:57]
	v_fma_f64 v[52:53], v[56:57], v[52:53], -v[62:63]
	s_delay_alu instid0(VALU_DEP_1) | instskip(NEXT) | instid1(VALU_DEP_1)
	v_fmac_f64_e32 v[52:53], v[56:57], v[50:51]
	v_add_f64_e32 v[50:51], v[62:63], v[52:53]
	s_delay_alu instid0(VALU_DEP_1) | instskip(SKIP_1) | instid1(VALU_DEP_2)
	v_add_f64_e64 v[60:61], v[58:59], -v[50:51]
	v_add_f64_e64 v[62:63], v[50:51], -v[62:63]
	;; [unrolled: 1-line block ×3, first 2 shown]
	s_delay_alu instid0(VALU_DEP_2) | instskip(NEXT) | instid1(VALU_DEP_2)
	v_add_f64_e64 v[52:53], v[62:63], -v[52:53]
	v_add_f64_e64 v[50:51], v[58:59], -v[50:51]
	s_delay_alu instid0(VALU_DEP_1) | instskip(NEXT) | instid1(VALU_DEP_1)
	v_add_f64_e32 v[50:51], v[52:53], v[50:51]
	v_add_f64_e32 v[50:51], v[60:61], v[50:51]
	s_delay_alu instid0(VALU_DEP_1) | instskip(NEXT) | instid1(VALU_DEP_1)
	v_mul_f64_e32 v[50:51], v[54:55], v[50:51]
	v_add_f64_e32 v[52:53], v[56:57], v[50:51]
	s_delay_alu instid0(VALU_DEP_1) | instskip(SKIP_1) | instid1(VALU_DEP_2)
	v_add_f64_e64 v[54:55], v[52:53], -v[56:57]
	v_mul_f64_e32 v[56:57], v[52:53], v[52:53]
	v_add_f64_e64 v[50:51], v[50:51], -v[54:55]
	s_delay_alu instid0(VALU_DEP_2) | instskip(NEXT) | instid1(VALU_DEP_2)
	v_fma_f64 v[54:55], v[52:53], v[52:53], -v[56:57]
	v_add_f64_e32 v[58:59], v[50:51], v[50:51]
	s_delay_alu instid0(VALU_DEP_1) | instskip(NEXT) | instid1(VALU_DEP_1)
	v_fmac_f64_e32 v[54:55], v[52:53], v[58:59]
	v_add_f64_e32 v[58:59], v[56:57], v[54:55]
	s_delay_alu instid0(VALU_DEP_1) | instskip(SKIP_2) | instid1(VALU_DEP_3)
	v_fmamk_f64 v[60:61], v[58:59], 0x3fbdee674222de17, v[38:39]
	v_add_f64_e64 v[56:57], v[58:59], -v[56:57]
	v_mul_f64_e32 v[66:67], v[52:53], v[58:59]
	v_fmaak_f64 v[60:61], v[58:59], v[60:61], 0x3fbe25e43abe935a
	s_delay_alu instid0(VALU_DEP_1) | instskip(NEXT) | instid1(VALU_DEP_1)
	v_fmaak_f64 v[60:61], v[58:59], v[60:61], 0x3fc110ef47e6c9c2
	v_fmaak_f64 v[60:61], v[58:59], v[60:61], 0x3fc3b13bcfa74449
	s_delay_alu instid0(VALU_DEP_1) | instskip(SKIP_1) | instid1(VALU_DEP_2)
	v_fmaak_f64 v[60:61], v[58:59], v[60:61], 0x3fc745d171bf3c30
	v_add_f64_e64 v[54:55], v[54:55], -v[56:57]
	v_fmaak_f64 v[60:61], v[58:59], v[60:61], 0x3fcc71c71c7792ce
	s_delay_alu instid0(VALU_DEP_1) | instskip(NEXT) | instid1(VALU_DEP_1)
	v_fmaak_f64 v[60:61], v[58:59], v[60:61], 0x3fd24924924920da
	v_fmaak_f64 v[60:61], v[58:59], v[60:61], 0x3fd999999999999c
	s_delay_alu instid0(VALU_DEP_1) | instskip(NEXT) | instid1(VALU_DEP_1)
	v_mul_f64_e32 v[62:63], v[58:59], v[60:61]
	v_fma_f64 v[56:57], v[58:59], v[60:61], -v[62:63]
	s_delay_alu instid0(VALU_DEP_1) | instskip(NEXT) | instid1(VALU_DEP_1)
	v_fmac_f64_e32 v[56:57], v[54:55], v[60:61]
	v_add_f64_e32 v[60:61], v[62:63], v[56:57]
	s_delay_alu instid0(VALU_DEP_1) | instskip(SKIP_1) | instid1(VALU_DEP_2)
	v_add_f64_e32 v[64:65], 0x3fe5555555555555, v[60:61]
	v_add_f64_e64 v[62:63], v[60:61], -v[62:63]
	v_add_f64_e32 v[68:69], 0xbfe5555555555555, v[64:65]
	s_delay_alu instid0(VALU_DEP_2) | instskip(SKIP_1) | instid1(VALU_DEP_3)
	v_add_f64_e64 v[56:57], v[56:57], -v[62:63]
	v_fma_f64 v[62:63], v[58:59], v[52:53], -v[66:67]
	v_add_f64_e64 v[60:61], v[60:61], -v[68:69]
	s_delay_alu instid0(VALU_DEP_3) | instskip(NEXT) | instid1(VALU_DEP_3)
	v_add_f64_e32 v[56:57], 0x3c8543b0d5df274d, v[56:57]
	v_fmac_f64_e32 v[62:63], v[58:59], v[50:51]
	v_ldexp_f64 v[50:51], v[50:51], 1
	s_delay_alu instid0(VALU_DEP_3) | instskip(NEXT) | instid1(VALU_DEP_3)
	v_add_f64_e32 v[56:57], v[56:57], v[60:61]
	v_fmac_f64_e32 v[62:63], v[54:55], v[52:53]
	v_ldexp_f64 v[52:53], v[52:53], 1
	s_delay_alu instid0(VALU_DEP_3) | instskip(NEXT) | instid1(VALU_DEP_3)
	v_add_f64_e32 v[54:55], v[64:65], v[56:57]
	v_add_f64_e32 v[58:59], v[66:67], v[62:63]
	s_delay_alu instid0(VALU_DEP_2) | instskip(NEXT) | instid1(VALU_DEP_2)
	v_add_f64_e64 v[60:61], v[64:65], -v[54:55]
	v_mul_f64_e32 v[64:65], v[58:59], v[54:55]
	v_add_f64_e64 v[66:67], v[58:59], -v[66:67]
	s_delay_alu instid0(VALU_DEP_3) | instskip(NEXT) | instid1(VALU_DEP_3)
	v_add_f64_e32 v[56:57], v[56:57], v[60:61]
	v_fma_f64 v[60:61], v[58:59], v[54:55], -v[64:65]
	s_delay_alu instid0(VALU_DEP_3) | instskip(NEXT) | instid1(VALU_DEP_2)
	v_add_f64_e64 v[62:63], v[62:63], -v[66:67]
	v_fmac_f64_e32 v[60:61], v[58:59], v[56:57]
	v_cvt_f64_i32_e32 v[56:57], v37
	s_delay_alu instid0(VALU_DEP_2) | instskip(NEXT) | instid1(VALU_DEP_1)
	v_fmac_f64_e32 v[60:61], v[62:63], v[54:55]
	v_add_f64_e32 v[54:55], v[64:65], v[60:61]
	s_delay_alu instid0(VALU_DEP_1) | instskip(SKIP_2) | instid1(VALU_DEP_3)
	v_add_f64_e32 v[58:59], v[52:53], v[54:55]
	v_add_f64_e64 v[62:63], v[54:55], -v[64:65]
	v_mul_f64_e32 v[64:65], 0x3fe62e42fefa39ef, v[56:57]
	v_add_f64_e64 v[52:53], v[58:59], -v[52:53]
	s_delay_alu instid0(VALU_DEP_3) | instskip(NEXT) | instid1(VALU_DEP_3)
	v_add_f64_e64 v[60:61], v[60:61], -v[62:63]
	v_fma_f64 v[62:63], v[56:57], s[8:9], -v[64:65]
	s_delay_alu instid0(VALU_DEP_3) | instskip(NEXT) | instid1(VALU_DEP_3)
	v_add_f64_e64 v[52:53], v[54:55], -v[52:53]
	v_add_f64_e32 v[50:51], v[50:51], v[60:61]
	s_delay_alu instid0(VALU_DEP_3) | instskip(NEXT) | instid1(VALU_DEP_2)
	v_fmac_f64_e32 v[62:63], 0x3c7abc9e3b39803f, v[56:57]
	v_add_f64_e32 v[50:51], v[50:51], v[52:53]
	s_delay_alu instid0(VALU_DEP_2) | instskip(NEXT) | instid1(VALU_DEP_2)
	v_add_f64_e32 v[52:53], v[64:65], v[62:63]
	v_add_f64_e32 v[54:55], v[58:59], v[50:51]
	s_delay_alu instid0(VALU_DEP_2) | instskip(NEXT) | instid1(VALU_DEP_2)
	v_add_f64_e64 v[64:65], v[52:53], -v[64:65]
	v_add_f64_e32 v[56:57], v[52:53], v[54:55]
	v_add_f64_e64 v[58:59], v[54:55], -v[58:59]
	s_delay_alu instid0(VALU_DEP_3) | instskip(NEXT) | instid1(VALU_DEP_3)
	v_add_f64_e64 v[62:63], v[62:63], -v[64:65]
	v_add_f64_e64 v[60:61], v[56:57], -v[52:53]
	s_delay_alu instid0(VALU_DEP_3) | instskip(NEXT) | instid1(VALU_DEP_2)
	v_add_f64_e64 v[50:51], v[50:51], -v[58:59]
	v_add_f64_e64 v[66:67], v[56:57], -v[60:61]
	;; [unrolled: 1-line block ×3, first 2 shown]
	s_delay_alu instid0(VALU_DEP_3) | instskip(NEXT) | instid1(VALU_DEP_3)
	v_add_f64_e32 v[58:59], v[62:63], v[50:51]
	v_add_f64_e64 v[52:53], v[52:53], -v[66:67]
	s_delay_alu instid0(VALU_DEP_1) | instskip(NEXT) | instid1(VALU_DEP_3)
	v_add_f64_e32 v[52:53], v[54:55], v[52:53]
	v_add_f64_e64 v[54:55], v[58:59], -v[62:63]
	s_delay_alu instid0(VALU_DEP_2) | instskip(NEXT) | instid1(VALU_DEP_2)
	v_add_f64_e32 v[52:53], v[58:59], v[52:53]
	v_add_f64_e64 v[58:59], v[58:59], -v[54:55]
	v_add_f64_e64 v[50:51], v[50:51], -v[54:55]
	s_delay_alu instid0(VALU_DEP_3) | instskip(NEXT) | instid1(VALU_DEP_3)
	v_add_f64_e32 v[60:61], v[56:57], v[52:53]
	v_add_f64_e64 v[54:55], v[62:63], -v[58:59]
	s_delay_alu instid0(VALU_DEP_2) | instskip(NEXT) | instid1(VALU_DEP_2)
	v_add_f64_e64 v[56:57], v[60:61], -v[56:57]
	v_add_f64_e32 v[50:51], v[50:51], v[54:55]
	s_delay_alu instid0(VALU_DEP_2) | instskip(NEXT) | instid1(VALU_DEP_1)
	v_add_f64_e64 v[52:53], v[52:53], -v[56:57]
	v_add_f64_e32 v[50:51], v[50:51], v[52:53]
	s_delay_alu instid0(VALU_DEP_1) | instskip(NEXT) | instid1(VALU_DEP_1)
	v_add_f64_e32 v[52:53], v[60:61], v[50:51]
	v_add_f64_e64 v[54:55], v[52:53], -v[60:61]
	v_mul_f64_e32 v[56:57], v[48:49], v[52:53]
	s_delay_alu instid0(VALU_DEP_2) | instskip(NEXT) | instid1(VALU_DEP_2)
	v_add_f64_e64 v[50:51], v[50:51], -v[54:55]
	v_fma_f64 v[52:53], v[48:49], v[52:53], -v[56:57]
	v_cmp_class_f64_e64 vcc_lo, v[56:57], 0x204
	s_delay_alu instid0(VALU_DEP_2) | instskip(NEXT) | instid1(VALU_DEP_1)
	v_fmac_f64_e32 v[52:53], v[48:49], v[50:51]
	v_add_f64_e32 v[50:51], v[56:57], v[52:53]
	s_delay_alu instid0(VALU_DEP_1) | instskip(SKIP_1) | instid1(VALU_DEP_2)
	v_dual_cndmask_b32 v55, v51, v57 :: v_dual_cndmask_b32 v54, v50, v56
	v_add_f64_e64 v[50:51], v[50:51], -v[56:57]
	v_mul_f64_e32 v[58:59], 0x3ff71547652b82fe, v[54:55]
	v_cmp_nlt_f64_e64 s0, 0x40900000, v[54:55]
	v_cmp_neq_f64_e64 vcc_lo, 0x7ff00000, |v[54:55]|
	v_cmp_ngt_f64_e64 s1, 0xc090cc00, v[54:55]
	v_add_f64_e64 v[50:51], v[52:53], -v[50:51]
	v_trunc_f64_e32 v[52:53], v[48:49]
	v_rndne_f64_e32 v[58:59], v[58:59]
	s_delay_alu instid0(VALU_DEP_3) | instskip(SKIP_1) | instid1(VALU_DEP_2)
	v_dual_cndmask_b32 v51, 0, v51 :: v_dual_cndmask_b32 v50, 0, v50
	s_and_b32 vcc_lo, s1, s0
	v_fmamk_f64 v[60:61], v[58:59], 0xbfe62e42fefa39ef, v[54:55]
	v_cvt_i32_f64_e32 v37, v[58:59]
	s_delay_alu instid0(VALU_DEP_2) | instskip(NEXT) | instid1(VALU_DEP_1)
	v_fmac_f64_e32 v[60:61], 0xbc7abc9e3b39803f, v[58:59]
	v_fmamk_f64 v[62:63], v[60:61], 0x3e5ade156a5dcb37, v[40:41]
	s_delay_alu instid0(VALU_DEP_1) | instskip(NEXT) | instid1(VALU_DEP_1)
	v_fmaak_f64 v[62:63], v[60:61], v[62:63], 0x3ec71dee623fde64
	v_fmaak_f64 v[62:63], v[60:61], v[62:63], 0x3efa01997c89e6b0
	s_delay_alu instid0(VALU_DEP_1) | instskip(NEXT) | instid1(VALU_DEP_1)
	v_fmaak_f64 v[62:63], v[60:61], v[62:63], 0x3f2a01a014761f6e
	v_fmaak_f64 v[62:63], v[60:61], v[62:63], 0x3f56c16c1852b7b0
	s_delay_alu instid0(VALU_DEP_1) | instskip(NEXT) | instid1(VALU_DEP_1)
	v_fmaak_f64 v[62:63], v[60:61], v[62:63], 0x3f81111111122322
	v_fmaak_f64 v[62:63], v[60:61], v[62:63], 0x3fa55555555502a1
	s_delay_alu instid0(VALU_DEP_1) | instskip(NEXT) | instid1(VALU_DEP_1)
	v_fmaak_f64 v[62:63], v[60:61], v[62:63], 0x3fc5555555555511
	v_fmaak_f64 v[62:63], v[60:61], v[62:63], 0x3fe000000000000b
	s_delay_alu instid0(VALU_DEP_1) | instskip(NEXT) | instid1(VALU_DEP_1)
	v_fma_f64 v[62:63], v[60:61], v[62:63], 1.0
	v_fma_f64 v[58:59], v[60:61], v[62:63], 1.0
	s_delay_alu instid0(VALU_DEP_1) | instskip(SKIP_1) | instid1(VALU_DEP_2)
	v_ldexp_f64 v[56:57], v[58:59], v37
	v_mul_f64_e32 v[58:59], 0.5, v[48:49]
	v_cndmask_b32_e64 v37, 0x7ff00000, v57, s0
	s_delay_alu instid0(VALU_DEP_2) | instskip(NEXT) | instid1(VALU_DEP_4)
	v_trunc_f64_e32 v[54:55], v[58:59]
	v_cndmask_b32_e32 v56, 0, v56, vcc_lo
	v_cmp_eq_f64_e32 vcc_lo, v[52:53], v[48:49]
	s_delay_alu instid0(VALU_DEP_4) | instskip(NEXT) | instid1(VALU_DEP_1)
	v_cndmask_b32_e64 v57, 0, v37, s1
	v_fma_f64 v[50:51], v[56:57], v[50:51], v[56:57]
	v_cmp_class_f64_e64 s1, v[56:57], 0x204
	v_cmp_neq_f64_e64 s0, v[54:55], v[58:59]
	s_delay_alu instid0(VALU_DEP_2) | instskip(SKIP_1) | instid1(VALU_DEP_1)
	v_dual_cndmask_b32 v51, v51, v57, s1 :: v_dual_cndmask_b32 v50, v50, v56, s1
	s_xor_b32 s1, s2, s3
	v_cndmask_b32_e32 v54, 0, v50, vcc_lo
	s_and_b32 s0, vcc_lo, s0
	s_delay_alu instid0(SALU_CYCLE_1) | instskip(SKIP_1) | instid1(VALU_DEP_2)
	v_cndmask_b32_e64 v37, 0x3ff00000, v47, s0
	v_cndmask_b32_e64 v53, 0, v47, s0
	v_bfi_b32 v37, 0x7fffffff, v51, v37
	v_cndmask_b32_e64 v51, 0x7ff00000, 0, s4
	v_cmp_gt_f64_e64 s4, 0, v[46:47]
	s_delay_alu instid0(VALU_DEP_3) | instskip(NEXT) | instid1(VALU_DEP_3)
	v_cndmask_b32_e32 v52, 0x7ff80000, v37, vcc_lo
	v_cndmask_b32_e64 v51, 0x3ff00000, v51, s5
	v_cmp_class_f64_e64 s5, v[48:49], 0x204
	s_or_b32 vcc_lo, s3, s19
	v_cndmask_b32_e64 v37, v37, v52, s4
	v_cndmask_b32_e64 v52, 0x7ff00000, 0, s1
	s_delay_alu instid0(VALU_DEP_2) | instskip(NEXT) | instid1(VALU_DEP_2)
	v_dual_cndmask_b32 v50, v50, v54, s4 :: v_dual_cndmask_b32 v37, v37, v51, s5
	v_bfi_b32 v52, 0x7fffffff, v52, v53
	s_or_b32 s0, vcc_lo, s5
	s_delay_alu instid0(VALU_DEP_2) | instid1(SALU_CYCLE_1)
	v_cndmask_b32_e64 v50, v50, 0, s0
	s_delay_alu instid0(VALU_DEP_2) | instskip(SKIP_1) | instid1(VALU_DEP_3)
	v_cndmask_b32_e32 v37, v37, v52, vcc_lo
	v_cmp_o_f64_e32 vcc_lo, v[46:47], v[48:49]
                                        ; implicit-def: $vgpr52
                                        ; implicit-def: $vgpr48_vgpr49
	v_cndmask_b32_e32 v46, 0, v50, vcc_lo
	s_delay_alu instid0(VALU_DEP_3) | instskip(NEXT) | instid1(VALU_DEP_1)
	v_cndmask_b32_e32 v47, 0x7ff80000, v37, vcc_lo
                                        ; implicit-def: $vgpr50_vgpr51
	v_cmp_ngt_f64_e64 s0, 0x41d00000, |v[46:47]|
	s_and_saveexec_b32 s1, s0
	s_delay_alu instid0(SALU_CYCLE_1)
	s_xor_b32 s0, exec_lo, s1
	s_cbranch_execz .LBB1_4
; %bb.3:                                ;   in Loop: Header=BB1_2 Depth=1
	v_ldexp_f64 v[48:49], |v[46:47]|, 0xffffff80
	v_cmp_le_f64_e64 vcc_lo, 0x7b000000, |v[46:47]|
	v_trig_preop_f64 v[50:51], |v[46:47]|, 0
	v_and_b32_e32 v37, 0x7fffffff, v47
	v_trig_preop_f64 v[52:53], |v[46:47]|, 1
	v_trig_preop_f64 v[62:63], |v[46:47]|, 2
	s_delay_alu instid0(VALU_DEP_3) | instskip(NEXT) | instid1(VALU_DEP_1)
	v_dual_cndmask_b32 v49, v37, v49 :: v_dual_cndmask_b32 v48, v46, v48
	v_mul_f64_e32 v[54:55], v[50:51], v[48:49]
	s_delay_alu instid0(VALU_DEP_4) | instskip(NEXT) | instid1(VALU_DEP_4)
	v_mul_f64_e32 v[56:57], v[52:53], v[48:49]
	v_mul_f64_e32 v[68:69], v[62:63], v[48:49]
	s_delay_alu instid0(VALU_DEP_3) | instskip(NEXT) | instid1(VALU_DEP_3)
	v_fma_f64 v[50:51], v[50:51], v[48:49], -v[54:55]
	v_fma_f64 v[52:53], v[52:53], v[48:49], -v[56:57]
	s_delay_alu instid0(VALU_DEP_3) | instskip(NEXT) | instid1(VALU_DEP_3)
	v_fma_f64 v[48:49], v[62:63], v[48:49], -v[68:69]
	v_add_f64_e32 v[58:59], v[56:57], v[50:51]
	s_delay_alu instid0(VALU_DEP_1) | instskip(SKIP_1) | instid1(VALU_DEP_2)
	v_add_f64_e64 v[60:61], v[58:59], -v[56:57]
	v_add_f64_e32 v[66:67], v[54:55], v[58:59]
	v_add_f64_e64 v[64:65], v[58:59], -v[60:61]
	v_add_f64_e64 v[50:51], v[50:51], -v[60:61]
	s_delay_alu instid0(VALU_DEP_3) | instskip(NEXT) | instid1(VALU_DEP_3)
	v_ldexp_f64 v[60:61], v[66:67], -2
	v_add_f64_e64 v[56:57], v[56:57], -v[64:65]
	v_add_f64_e32 v[64:65], v[68:69], v[52:53]
	s_delay_alu instid0(VALU_DEP_3) | instskip(NEXT) | instid1(VALU_DEP_3)
	v_cmp_neq_f64_e64 vcc_lo, 0x7ff00000, |v[60:61]|
	v_add_f64_e32 v[50:51], v[50:51], v[56:57]
	v_fract_f64_e32 v[56:57], v[60:61]
	s_delay_alu instid0(VALU_DEP_1) | instskip(NEXT) | instid1(VALU_DEP_1)
	v_ldexp_f64 v[56:57], v[56:57], 2
	v_dual_add_f64 v[54:55], v[66:67], -v[54:55] :: v_dual_cndmask_b32 v56, 0, v56, vcc_lo
	s_delay_alu instid0(VALU_DEP_1) | instskip(SKIP_1) | instid1(VALU_DEP_1)
	v_dual_add_f64 v[54:55], v[58:59], -v[54:55] :: v_dual_cndmask_b32 v57, 0, v57, vcc_lo
	v_add_f64_e32 v[58:59], v[64:65], v[50:51]
	v_add_f64_e32 v[60:61], v[54:55], v[58:59]
	v_add_f64_e64 v[70:71], v[58:59], -v[64:65]
	s_delay_alu instid0(VALU_DEP_2) | instskip(NEXT) | instid1(VALU_DEP_2)
	v_add_f64_e32 v[66:67], v[60:61], v[56:57]
	v_add_f64_e64 v[76:77], v[58:59], -v[70:71]
	v_add_f64_e64 v[50:51], v[50:51], -v[70:71]
	;; [unrolled: 1-line block ×3, first 2 shown]
	s_delay_alu instid0(VALU_DEP_4) | instskip(SKIP_2) | instid1(VALU_DEP_2)
	v_cmp_gt_f64_e32 vcc_lo, 0, v[66:67]
	v_add_f64_e64 v[66:67], v[64:65], -v[68:69]
	v_cndmask_b32_e64 v37, 0, 0x40100000, vcc_lo
	v_add_f64_e64 v[74:75], v[64:65], -v[66:67]
	v_add_f64_e64 v[52:53], v[52:53], -v[66:67]
	;; [unrolled: 1-line block ×3, first 2 shown]
	s_delay_alu instid0(VALU_DEP_4) | instskip(NEXT) | instid1(VALU_DEP_4)
	v_add_f64_e32 v[56:57], v[56:57], v[36:37]
	v_add_f64_e64 v[66:67], v[68:69], -v[74:75]
	s_delay_alu instid0(VALU_DEP_3) | instskip(NEXT) | instid1(VALU_DEP_3)
	v_add_f64_e32 v[50:51], v[50:51], v[64:65]
	v_add_f64_e32 v[72:73], v[60:61], v[56:57]
	s_delay_alu instid0(VALU_DEP_3) | instskip(NEXT) | instid1(VALU_DEP_2)
	v_add_f64_e32 v[52:53], v[52:53], v[66:67]
	v_cvt_i32_f64_e32 v37, v[72:73]
	s_delay_alu instid0(VALU_DEP_2) | instskip(SKIP_1) | instid1(VALU_DEP_3)
	v_add_f64_e32 v[50:51], v[52:53], v[50:51]
	v_add_f64_e64 v[52:53], v[58:59], -v[54:55]
	v_cvt_f64_i32_e32 v[70:71], v37
	s_delay_alu instid0(VALU_DEP_3) | instskip(NEXT) | instid1(VALU_DEP_2)
	v_add_f64_e32 v[48:49], v[48:49], v[50:51]
	v_add_f64_e64 v[56:57], v[56:57], -v[70:71]
	s_delay_alu instid0(VALU_DEP_2) | instskip(NEXT) | instid1(VALU_DEP_2)
	v_add_f64_e32 v[48:49], v[52:53], v[48:49]
	v_add_f64_e32 v[62:63], v[60:61], v[56:57]
	s_delay_alu instid0(VALU_DEP_1) | instskip(SKIP_1) | instid1(VALU_DEP_2)
	v_add_f64_e64 v[50:51], v[62:63], -v[56:57]
	v_cmp_le_f64_e32 vcc_lo, 0.5, v[62:63]
	v_add_f64_e64 v[50:51], v[60:61], -v[50:51]
	v_add_co_ci_u32_e64 v52, null, 0, v37, vcc_lo
	v_cndmask_b32_e64 v37, 0, 0x3ff00000, vcc_lo
	s_delay_alu instid0(VALU_DEP_3) | instskip(NEXT) | instid1(VALU_DEP_2)
	v_add_f64_e32 v[48:49], v[48:49], v[50:51]
	v_add_f64_e64 v[50:51], v[62:63], -v[36:37]
	s_delay_alu instid0(VALU_DEP_1) | instskip(NEXT) | instid1(VALU_DEP_1)
	v_add_f64_e32 v[54:55], v[50:51], v[48:49]
	v_mul_f64_e32 v[56:57], 0x3ff921fb54442d18, v[54:55]
	v_add_f64_e64 v[50:51], v[54:55], -v[50:51]
	s_delay_alu instid0(VALU_DEP_2) | instskip(NEXT) | instid1(VALU_DEP_2)
	v_fma_f64 v[58:59], v[54:55], s[10:11], -v[56:57]
	v_add_f64_e64 v[48:49], v[48:49], -v[50:51]
	s_delay_alu instid0(VALU_DEP_2) | instskip(NEXT) | instid1(VALU_DEP_1)
	v_fmac_f64_e32 v[58:59], 0x3c91a62633145c07, v[54:55]
	v_fmac_f64_e32 v[58:59], 0x3ff921fb54442d18, v[48:49]
	s_delay_alu instid0(VALU_DEP_1) | instskip(NEXT) | instid1(VALU_DEP_1)
	v_add_f64_e32 v[48:49], v[56:57], v[58:59]
	v_add_f64_e64 v[50:51], v[48:49], -v[56:57]
	s_delay_alu instid0(VALU_DEP_1)
	v_add_f64_e64 v[50:51], v[58:59], -v[50:51]
.LBB1_4:                                ;   in Loop: Header=BB1_2 Depth=1
	s_and_not1_saveexec_b32 s0, s0
	s_cbranch_execz .LBB1_1
; %bb.5:                                ;   in Loop: Header=BB1_2 Depth=1
	v_mul_f64_e64 v[48:49], |v[46:47]|, s[12:13]
	s_delay_alu instid0(VALU_DEP_1) | instskip(NEXT) | instid1(VALU_DEP_1)
	v_rndne_f64_e32 v[52:53], v[48:49]
	v_fma_f64 v[48:49], v[52:53], s[14:15], |v[46:47]|
	v_mul_f64_e32 v[50:51], 0xbc91a62633145c00, v[52:53]
	s_delay_alu instid0(VALU_DEP_2) | instskip(NEXT) | instid1(VALU_DEP_2)
	v_fmamk_f64 v[58:59], v[52:53], 0xbc91a62633145c00, v[48:49]
	v_add_f64_e32 v[54:55], v[48:49], v[50:51]
	s_delay_alu instid0(VALU_DEP_1) | instskip(NEXT) | instid1(VALU_DEP_3)
	v_add_f64_e64 v[56:57], v[48:49], -v[54:55]
	v_add_f64_e64 v[48:49], v[54:55], -v[58:59]
	s_delay_alu instid0(VALU_DEP_2) | instskip(SKIP_1) | instid1(VALU_DEP_2)
	v_add_f64_e32 v[54:55], v[56:57], v[50:51]
	v_fmamk_f64 v[50:51], v[52:53], 0x3c91a62633145c00, v[50:51]
	v_add_f64_e32 v[48:49], v[48:49], v[54:55]
	s_delay_alu instid0(VALU_DEP_1) | instskip(NEXT) | instid1(VALU_DEP_1)
	v_add_f64_e64 v[50:51], v[48:49], -v[50:51]
	v_fmac_f64_e32 v[50:51], 0xb97b839a252049c0, v[52:53]
	v_cvt_i32_f64_e32 v52, v[52:53]
	s_delay_alu instid0(VALU_DEP_2) | instskip(NEXT) | instid1(VALU_DEP_1)
	v_add_f64_e32 v[48:49], v[58:59], v[50:51]
	v_add_f64_e64 v[54:55], v[48:49], -v[58:59]
	s_delay_alu instid0(VALU_DEP_1)
	v_add_f64_e64 v[50:51], v[50:51], -v[54:55]
	s_branch .LBB1_1
.LBB1_6:
	v_cvt_f64_i32_e32 v[2:3], s16
	s_mov_b32 s0, exec_lo
	s_delay_alu instid0(VALU_DEP_1)
	v_cmpx_eq_f64_e32 v[34:35], v[2:3]
	s_cbranch_execz .LBB1_8
; %bb.7:
	global_store_b64 v[0:1], v[34:35], off
.LBB1_8:
	s_sendmsg sendmsg(MSG_DEALLOC_VGPRS)
	s_endpgm
	.section	.rodata,"a",@progbits
	.p2align	6, 0x0
	.amdhsa_kernel _Z9vgprboundiPd
		.amdhsa_group_segment_fixed_size 0
		.amdhsa_private_segment_fixed_size 0
		.amdhsa_kernarg_size 16
		.amdhsa_user_sgpr_count 2
		.amdhsa_user_sgpr_dispatch_ptr 0
		.amdhsa_user_sgpr_queue_ptr 0
		.amdhsa_user_sgpr_kernarg_segment_ptr 1
		.amdhsa_user_sgpr_dispatch_id 0
		.amdhsa_user_sgpr_kernarg_preload_length 0
		.amdhsa_user_sgpr_kernarg_preload_offset 0
		.amdhsa_user_sgpr_private_segment_size 0
		.amdhsa_wavefront_size32 1
		.amdhsa_uses_dynamic_stack 0
		.amdhsa_enable_private_segment 0
		.amdhsa_system_sgpr_workgroup_id_x 1
		.amdhsa_system_sgpr_workgroup_id_y 0
		.amdhsa_system_sgpr_workgroup_id_z 0
		.amdhsa_system_sgpr_workgroup_info 0
		.amdhsa_system_vgpr_workitem_id 0
		.amdhsa_next_free_vgpr 78
		.amdhsa_next_free_sgpr 20
		.amdhsa_named_barrier_count 0
		.amdhsa_reserve_vcc 1
		.amdhsa_float_round_mode_32 0
		.amdhsa_float_round_mode_16_64 0
		.amdhsa_float_denorm_mode_32 3
		.amdhsa_float_denorm_mode_16_64 3
		.amdhsa_fp16_overflow 0
		.amdhsa_memory_ordered 1
		.amdhsa_forward_progress 1
		.amdhsa_inst_pref_size 26
		.amdhsa_round_robin_scheduling 0
		.amdhsa_exception_fp_ieee_invalid_op 0
		.amdhsa_exception_fp_denorm_src 0
		.amdhsa_exception_fp_ieee_div_zero 0
		.amdhsa_exception_fp_ieee_overflow 0
		.amdhsa_exception_fp_ieee_underflow 0
		.amdhsa_exception_fp_ieee_inexact 0
		.amdhsa_exception_int_div_zero 0
	.end_amdhsa_kernel
	.text
.Lfunc_end1:
	.size	_Z9vgprboundiPd, .Lfunc_end1-_Z9vgprboundiPd
                                        ; -- End function
	.set _Z9vgprboundiPd.num_vgpr, 78
	.set _Z9vgprboundiPd.num_agpr, 0
	.set _Z9vgprboundiPd.numbered_sgpr, 20
	.set _Z9vgprboundiPd.num_named_barrier, 0
	.set _Z9vgprboundiPd.private_seg_size, 0
	.set _Z9vgprboundiPd.uses_vcc, 1
	.set _Z9vgprboundiPd.uses_flat_scratch, 0
	.set _Z9vgprboundiPd.has_dyn_sized_stack, 0
	.set _Z9vgprboundiPd.has_recursion, 0
	.set _Z9vgprboundiPd.has_indirect_call, 0
	.section	.AMDGPU.csdata,"",@progbits
; Kernel info:
; codeLenInByte = 3212
; TotalNumSgprs: 22
; NumVgprs: 78
; ScratchSize: 0
; MemoryBound: 0
; FloatMode: 240
; IeeeMode: 1
; LDSByteSize: 0 bytes/workgroup (compile time only)
; SGPRBlocks: 0
; VGPRBlocks: 4
; NumSGPRsForWavesPerEU: 22
; NumVGPRsForWavesPerEU: 78
; NamedBarCnt: 0
; Occupancy: 12
; WaveLimiterHint : 0
; COMPUTE_PGM_RSRC2:SCRATCH_EN: 0
; COMPUTE_PGM_RSRC2:USER_SGPR: 2
; COMPUTE_PGM_RSRC2:TRAP_HANDLER: 0
; COMPUTE_PGM_RSRC2:TGID_X_EN: 1
; COMPUTE_PGM_RSRC2:TGID_Y_EN: 0
; COMPUTE_PGM_RSRC2:TGID_Z_EN: 0
; COMPUTE_PGM_RSRC2:TIDIG_COMP_CNT: 0
	.text
	.protected	_Z8ldsboundiPd          ; -- Begin function _Z8ldsboundiPd
	.globl	_Z8ldsboundiPd
	.p2align	8
	.type	_Z8ldsboundiPd,@function
_Z8ldsboundiPd:                         ; @_Z8ldsboundiPd
; %bb.0:
	s_clause 0x1
	s_load_b32 s14, s[0:1], 0x0
	s_load_b32 s2, s[0:1], 0x1c
	v_mov_b32_e32 v5, v0
	s_wait_kmcnt 0x0
	v_mul_lo_u32 v1, s14, v0
	s_and_b32 s15, s2, 0xffff
	s_mov_b32 s2, 0
	s_lshl_b32 s16, s15, 3
	s_delay_alu instid0(VALU_DEP_1) | instskip(SKIP_1) | instid1(VALU_DEP_1)
	v_cvt_f64_u32_e32 v[2:3], v1
	v_lshlrev_b32_e32 v1, 3, v0
	v_mov_b32_e32 v4, v1
.LBB2_1:                                ; =>This Inner Loop Header: Depth=1
	v_add_nc_u32_e32 v5, s15, v5
	ds_store_b64 v4, v[2:3]
	v_add_nc_u32_e32 v4, s16, v4
	v_cmp_lt_u32_e32 vcc_lo, 0x1fff, v5
	s_or_b32 s2, vcc_lo, s2
	s_delay_alu instid0(SALU_CYCLE_1)
	s_and_not1_b32 exec_lo, exec_lo, s2
	s_cbranch_execnz .LBB2_1
; %bb.2:
	s_or_b32 exec_lo, exec_lo, s2
	s_load_b64 s[0:1], s[0:1], 0x8
	s_wait_dscnt 0x0
	s_barrier_signal -1
	s_barrier_wait -1
	v_dual_mov_b32 v6, 0 :: v_dual_lshlrev_b32 v4, 3, v0
	v_mov_b64_e32 v[8:9], 0x3fba6564968915a9
	v_mov_b64_e32 v[10:11], 0x3e928af3fca7ab0c
	;; [unrolled: 1-line block ×3, first 2 shown]
	s_delay_alu instid0(VALU_DEP_4)
	v_mov_b32_e32 v5, v6
	v_mov_b64_e32 v[14:15], 0xbe5ae600b42fdfa7
	s_mov_b64 s[4:5], 0x3fe5555555555555
	s_mov_b64 s[6:7], 0x3fe62e42fefa39ef
	;; [unrolled: 1-line block ×5, first 2 shown]
	s_mov_b32 s17, 0
                                        ; implicit-def: $vgpr16_vgpr17
                                        ; implicit-def: $vgpr16_vgpr17
	;; [unrolled: 1-line block ×22, first 2 shown]
	s_wait_kmcnt 0x0
	global_load_b64 v[2:3], v0, s[0:1] scale_offset
	v_add_nc_u64_e32 v[4:5], s[0:1], v[4:5]
	s_branch .LBB2_4
.LBB2_3:                                ;   in Loop: Header=BB2_4 Depth=1
	s_or_b32 exec_lo, exec_lo, s0
	v_cmp_class_f64_e64 s0, v[16:17], 0x1f8
	v_lshlrev_b32_e32 v16, 30, v22
	v_mul_f64_e32 v[24:25], v[18:19], v[18:19]
	s_barrier_signal -1
	s_barrier_wait -1
	s_delay_alu instid0(VALU_DEP_2) | instskip(SKIP_1) | instid1(VALU_DEP_1)
	v_xor_b32_e32 v16, v16, v17
	v_dual_add_nc_u32 v0, s15, v0 :: v_dual_bitop2_b32 v7, 1, v22 bitop3:0x40
	v_cmp_eq_u32_e32 vcc_lo, 0, v7
	v_mul_f64_e32 v[30:31], 0.5, v[20:21]
	v_mul_f64_e32 v[26:27], 0.5, v[24:25]
	v_mul_f64_e64 v[32:33], v[18:19], -v[24:25]
	v_fmamk_f64 v[36:37], v[24:25], 0x3de5e0b2f9a43bb8, v[14:15]
	s_delay_alu instid0(VALU_DEP_1) | instskip(NEXT) | instid1(VALU_DEP_1)
	v_fmaak_f64 v[36:37], v[24:25], v[36:37], 0x3ec71de3796cde01
	v_fmaak_f64 v[36:37], v[24:25], v[36:37], 0xbf2a01a019e83e5c
	s_delay_alu instid0(VALU_DEP_1) | instskip(SKIP_1) | instid1(VALU_DEP_2)
	v_fmaak_f64 v[36:37], v[24:25], v[36:37], 0x3f81111111110bb3
	v_add_f64_e64 v[28:29], -v[26:27], 1.0
	v_fmac_f64_e32 v[30:31], v[32:33], v[36:37]
	v_mul_f64_e32 v[36:37], v[24:25], v[24:25]
	s_delay_alu instid0(VALU_DEP_3) | instskip(NEXT) | instid1(VALU_DEP_3)
	v_add_f64_e64 v[34:35], -v[28:29], 1.0
	v_fma_f64 v[30:31], v[24:25], v[30:31], -v[20:21]
	s_delay_alu instid0(VALU_DEP_2) | instskip(SKIP_1) | instid1(VALU_DEP_3)
	v_add_f64_e64 v[26:27], v[34:35], -v[26:27]
	v_fmamk_f64 v[34:35], v[24:25], 0xbda907db46cc5e42, v[12:13]
	v_fmac_f64_e32 v[30:31], 0xbfc5555555555555, v[32:33]
	s_delay_alu instid0(VALU_DEP_3) | instskip(NEXT) | instid1(VALU_DEP_3)
	v_fma_f64 v[20:21], v[18:19], -v[20:21], v[26:27]
	v_fmaak_f64 v[26:27], v[24:25], v[34:35], 0xbe927e4fa17f65f6
	s_delay_alu instid0(VALU_DEP_3) | instskip(NEXT) | instid1(VALU_DEP_2)
	v_add_f64_e64 v[18:19], v[18:19], -v[30:31]
	v_fmaak_f64 v[26:27], v[24:25], v[26:27], 0x3efa01a019f4ec90
	s_delay_alu instid0(VALU_DEP_1) | instskip(NEXT) | instid1(VALU_DEP_1)
	v_fmaak_f64 v[26:27], v[24:25], v[26:27], 0xbf56c16c16c16967
	v_fmaak_f64 v[24:25], v[24:25], v[26:27], 0x3fa5555555555555
	s_delay_alu instid0(VALU_DEP_1) | instskip(NEXT) | instid1(VALU_DEP_1)
	v_fmac_f64_e32 v[20:21], v[36:37], v[24:25]
	v_add_f64_e32 v[20:21], v[28:29], v[20:21]
	s_delay_alu instid0(VALU_DEP_1) | instskip(SKIP_1) | instid1(VALU_DEP_2)
	v_dual_cndmask_b32 v17, v21, v19, vcc_lo :: v_dual_cndmask_b32 v7, v20, v18, vcc_lo
	v_cmp_lt_u32_e32 vcc_lo, 0x1fff, v0
	v_bitop3_b32 v17, v17, v16, 0x80000000 bitop3:0x78
	s_delay_alu instid0(VALU_DEP_3) | instskip(SKIP_1) | instid1(VALU_DEP_2)
	v_cndmask_b32_e64 v16, 0, v7, s0
	s_or_b32 s17, vcc_lo, s17
	v_cndmask_b32_e64 v17, 0x7ff80000, v17, s0
	s_delay_alu instid0(VALU_DEP_1)
	v_add_f64_e32 v[2:3], v[2:3], v[16:17]
	ds_store_b64 v1, v[2:3]
	v_add_nc_u32_e32 v1, s16, v1
	s_and_not1_b32 exec_lo, exec_lo, s17
	s_cbranch_execz .LBB2_8
.LBB2_4:                                ; =>This Inner Loop Header: Depth=1
	v_dual_add_nc_u32 v7, -1, v0 :: v_dual_lshlrev_b32 v16, 2, v0
	s_delay_alu instid0(VALU_DEP_1) | instskip(NEXT) | instid1(VALU_DEP_2)
	v_and_b32_e32 v7, 0x1fff, v7
	v_and_b32_e32 v17, 0x7c, v16
	s_wait_loadcnt 0x0
	ds_bpermute_b32 v16, v17, v2
	ds_bpermute_b32 v17, v17, v3
	v_lshlrev_b32_e32 v7, 3, v7
	ds_load_b64 v[18:19], v7
	s_wait_dscnt 0x0
	v_mul_f64_e32 v[16:17], v[18:19], v[16:17]
	ds_load_b64 v[18:19], v1
	v_cmp_neq_f64_e32 vcc_lo, 1.0, v[16:17]
	s_wait_dscnt 0x0
	v_cndmask_b32_e32 v19, 0x3ff00000, v19, vcc_lo
	v_cndmask_b32_e32 v18, 0, v18, vcc_lo
	s_delay_alu instid0(VALU_DEP_1) | instskip(SKIP_3) | instid1(VALU_DEP_2)
	v_cmp_neq_f64_e32 vcc_lo, 0, v[18:19]
	v_cndmask_b32_e32 v17, 0x3ff00000, v17, vcc_lo
	v_cndmask_b32_e32 v16, 0, v16, vcc_lo
	v_cmp_neq_f64_e64 s3, v[18:19], |v[18:19]|
	v_frexp_mant_f64_e64 v[20:21], |v[16:17]|
	v_cmp_lt_f64_e64 s18, |v[16:17]|, 1.0
	v_cmp_eq_f64_e64 s2, 0, v[16:17]
	s_delay_alu instid0(VALU_DEP_3) | instskip(SKIP_3) | instid1(VALU_DEP_1)
	v_cmp_gt_f64_e32 vcc_lo, s[4:5], v[20:21]
	s_xor_b32 s3, s3, s18
	v_cmp_class_f64_e64 s18, v[16:17], 0x204
	v_cndmask_b32_e64 v7, 0, 1, vcc_lo
	v_ldexp_f64 v[20:21], v[20:21], v7
	v_frexp_exp_i32_f64_e32 v7, v[16:17]
	s_delay_alu instid0(VALU_DEP_2) | instskip(SKIP_1) | instid1(VALU_DEP_3)
	v_add_f64_e32 v[22:23], 1.0, v[20:21]
	v_add_f64_e32 v[28:29], -1.0, v[20:21]
	v_subrev_co_ci_u32_e64 v7, null, 0, v7, vcc_lo
	s_delay_alu instid0(VALU_DEP_3) | instskip(SKIP_1) | instid1(VALU_DEP_1)
	v_rcp_f64_e32 v[24:25], v[22:23]
	v_add_f64_e32 v[30:31], -1.0, v[22:23]
	v_add_f64_e64 v[20:21], v[20:21], -v[30:31]
	s_delay_alu instid0(TRANS32_DEP_1) | instskip(NEXT) | instid1(VALU_DEP_1)
	v_fma_f64 v[26:27], -v[22:23], v[24:25], 1.0
	v_fmac_f64_e32 v[24:25], v[26:27], v[24:25]
	s_delay_alu instid0(VALU_DEP_1) | instskip(NEXT) | instid1(VALU_DEP_1)
	v_fma_f64 v[26:27], -v[22:23], v[24:25], 1.0
	v_fmac_f64_e32 v[24:25], v[26:27], v[24:25]
	s_delay_alu instid0(VALU_DEP_1) | instskip(NEXT) | instid1(VALU_DEP_1)
	v_mul_f64_e32 v[26:27], v[28:29], v[24:25]
	v_mul_f64_e32 v[32:33], v[22:23], v[26:27]
	s_delay_alu instid0(VALU_DEP_1) | instskip(NEXT) | instid1(VALU_DEP_1)
	v_fma_f64 v[22:23], v[26:27], v[22:23], -v[32:33]
	v_fmac_f64_e32 v[22:23], v[26:27], v[20:21]
	s_delay_alu instid0(VALU_DEP_1) | instskip(NEXT) | instid1(VALU_DEP_1)
	v_add_f64_e32 v[20:21], v[32:33], v[22:23]
	v_add_f64_e64 v[30:31], v[28:29], -v[20:21]
	v_add_f64_e64 v[32:33], v[20:21], -v[32:33]
	s_delay_alu instid0(VALU_DEP_2) | instskip(NEXT) | instid1(VALU_DEP_2)
	v_add_f64_e64 v[28:29], v[28:29], -v[30:31]
	v_add_f64_e64 v[22:23], v[32:33], -v[22:23]
	s_delay_alu instid0(VALU_DEP_2) | instskip(NEXT) | instid1(VALU_DEP_1)
	v_add_f64_e64 v[20:21], v[28:29], -v[20:21]
	v_add_f64_e32 v[20:21], v[22:23], v[20:21]
	s_delay_alu instid0(VALU_DEP_1) | instskip(NEXT) | instid1(VALU_DEP_1)
	v_add_f64_e32 v[20:21], v[30:31], v[20:21]
	v_mul_f64_e32 v[20:21], v[24:25], v[20:21]
	s_delay_alu instid0(VALU_DEP_1) | instskip(NEXT) | instid1(VALU_DEP_1)
	v_add_f64_e32 v[22:23], v[26:27], v[20:21]
	v_add_f64_e64 v[24:25], v[22:23], -v[26:27]
	v_mul_f64_e32 v[26:27], v[22:23], v[22:23]
	s_delay_alu instid0(VALU_DEP_2) | instskip(NEXT) | instid1(VALU_DEP_2)
	v_add_f64_e64 v[20:21], v[20:21], -v[24:25]
	v_fma_f64 v[24:25], v[22:23], v[22:23], -v[26:27]
	s_delay_alu instid0(VALU_DEP_2) | instskip(NEXT) | instid1(VALU_DEP_1)
	v_add_f64_e32 v[28:29], v[20:21], v[20:21]
	v_fmac_f64_e32 v[24:25], v[22:23], v[28:29]
	s_delay_alu instid0(VALU_DEP_1) | instskip(NEXT) | instid1(VALU_DEP_1)
	v_add_f64_e32 v[28:29], v[26:27], v[24:25]
	v_fmamk_f64 v[30:31], v[28:29], 0x3fbdee674222de17, v[8:9]
	v_add_f64_e64 v[26:27], v[28:29], -v[26:27]
	v_mul_f64_e32 v[36:37], v[22:23], v[28:29]
	s_delay_alu instid0(VALU_DEP_3) | instskip(NEXT) | instid1(VALU_DEP_1)
	v_fmaak_f64 v[30:31], v[28:29], v[30:31], 0x3fbe25e43abe935a
	v_fmaak_f64 v[30:31], v[28:29], v[30:31], 0x3fc110ef47e6c9c2
	s_delay_alu instid0(VALU_DEP_1) | instskip(NEXT) | instid1(VALU_DEP_1)
	v_fmaak_f64 v[30:31], v[28:29], v[30:31], 0x3fc3b13bcfa74449
	v_fmaak_f64 v[30:31], v[28:29], v[30:31], 0x3fc745d171bf3c30
	v_add_f64_e64 v[24:25], v[24:25], -v[26:27]
	s_delay_alu instid0(VALU_DEP_2) | instskip(NEXT) | instid1(VALU_DEP_1)
	v_fmaak_f64 v[30:31], v[28:29], v[30:31], 0x3fcc71c71c7792ce
	v_fmaak_f64 v[30:31], v[28:29], v[30:31], 0x3fd24924924920da
	s_delay_alu instid0(VALU_DEP_1) | instskip(NEXT) | instid1(VALU_DEP_1)
	v_fmaak_f64 v[30:31], v[28:29], v[30:31], 0x3fd999999999999c
	v_mul_f64_e32 v[32:33], v[28:29], v[30:31]
	s_delay_alu instid0(VALU_DEP_1) | instskip(NEXT) | instid1(VALU_DEP_1)
	v_fma_f64 v[26:27], v[28:29], v[30:31], -v[32:33]
	v_fmac_f64_e32 v[26:27], v[24:25], v[30:31]
	s_delay_alu instid0(VALU_DEP_1) | instskip(NEXT) | instid1(VALU_DEP_1)
	v_add_f64_e32 v[30:31], v[32:33], v[26:27]
	v_add_f64_e32 v[34:35], 0x3fe5555555555555, v[30:31]
	v_add_f64_e64 v[32:33], v[30:31], -v[32:33]
	s_delay_alu instid0(VALU_DEP_2) | instskip(NEXT) | instid1(VALU_DEP_2)
	v_add_f64_e32 v[38:39], 0xbfe5555555555555, v[34:35]
	v_add_f64_e64 v[26:27], v[26:27], -v[32:33]
	v_fma_f64 v[32:33], v[28:29], v[22:23], -v[36:37]
	s_delay_alu instid0(VALU_DEP_3) | instskip(NEXT) | instid1(VALU_DEP_3)
	v_add_f64_e64 v[30:31], v[30:31], -v[38:39]
	v_add_f64_e32 v[26:27], 0x3c8543b0d5df274d, v[26:27]
	s_delay_alu instid0(VALU_DEP_3) | instskip(SKIP_1) | instid1(VALU_DEP_3)
	v_fmac_f64_e32 v[32:33], v[28:29], v[20:21]
	v_ldexp_f64 v[20:21], v[20:21], 1
	v_add_f64_e32 v[26:27], v[26:27], v[30:31]
	s_delay_alu instid0(VALU_DEP_3) | instskip(SKIP_1) | instid1(VALU_DEP_3)
	v_fmac_f64_e32 v[32:33], v[24:25], v[22:23]
	v_ldexp_f64 v[22:23], v[22:23], 1
	v_add_f64_e32 v[24:25], v[34:35], v[26:27]
	s_delay_alu instid0(VALU_DEP_3) | instskip(NEXT) | instid1(VALU_DEP_2)
	v_add_f64_e32 v[28:29], v[36:37], v[32:33]
	v_add_f64_e64 v[30:31], v[34:35], -v[24:25]
	s_delay_alu instid0(VALU_DEP_2) | instskip(SKIP_1) | instid1(VALU_DEP_3)
	v_mul_f64_e32 v[34:35], v[28:29], v[24:25]
	v_add_f64_e64 v[36:37], v[28:29], -v[36:37]
	v_add_f64_e32 v[26:27], v[26:27], v[30:31]
	s_delay_alu instid0(VALU_DEP_3) | instskip(NEXT) | instid1(VALU_DEP_3)
	v_fma_f64 v[30:31], v[28:29], v[24:25], -v[34:35]
	v_add_f64_e64 v[32:33], v[32:33], -v[36:37]
	s_delay_alu instid0(VALU_DEP_2) | instskip(SKIP_1) | instid1(VALU_DEP_2)
	v_fmac_f64_e32 v[30:31], v[28:29], v[26:27]
	v_cvt_f64_i32_e32 v[26:27], v7
	v_fmac_f64_e32 v[30:31], v[32:33], v[24:25]
	s_delay_alu instid0(VALU_DEP_1) | instskip(NEXT) | instid1(VALU_DEP_1)
	v_add_f64_e32 v[24:25], v[34:35], v[30:31]
	v_add_f64_e32 v[28:29], v[22:23], v[24:25]
	v_add_f64_e64 v[32:33], v[24:25], -v[34:35]
	v_mul_f64_e32 v[34:35], 0x3fe62e42fefa39ef, v[26:27]
	s_delay_alu instid0(VALU_DEP_3) | instskip(NEXT) | instid1(VALU_DEP_3)
	v_add_f64_e64 v[22:23], v[28:29], -v[22:23]
	v_add_f64_e64 v[30:31], v[30:31], -v[32:33]
	s_delay_alu instid0(VALU_DEP_3) | instskip(NEXT) | instid1(VALU_DEP_3)
	v_fma_f64 v[32:33], v[26:27], s[6:7], -v[34:35]
	v_add_f64_e64 v[22:23], v[24:25], -v[22:23]
	s_delay_alu instid0(VALU_DEP_3) | instskip(NEXT) | instid1(VALU_DEP_3)
	v_add_f64_e32 v[20:21], v[20:21], v[30:31]
	v_fmac_f64_e32 v[32:33], 0x3c7abc9e3b39803f, v[26:27]
	s_delay_alu instid0(VALU_DEP_2) | instskip(NEXT) | instid1(VALU_DEP_2)
	v_add_f64_e32 v[20:21], v[20:21], v[22:23]
	v_add_f64_e32 v[22:23], v[34:35], v[32:33]
	s_delay_alu instid0(VALU_DEP_2) | instskip(NEXT) | instid1(VALU_DEP_2)
	v_add_f64_e32 v[24:25], v[28:29], v[20:21]
	v_add_f64_e64 v[34:35], v[22:23], -v[34:35]
	s_delay_alu instid0(VALU_DEP_2) | instskip(SKIP_1) | instid1(VALU_DEP_3)
	v_add_f64_e32 v[26:27], v[22:23], v[24:25]
	v_add_f64_e64 v[28:29], v[24:25], -v[28:29]
	v_add_f64_e64 v[32:33], v[32:33], -v[34:35]
	s_delay_alu instid0(VALU_DEP_3) | instskip(NEXT) | instid1(VALU_DEP_3)
	v_add_f64_e64 v[30:31], v[26:27], -v[22:23]
	v_add_f64_e64 v[20:21], v[20:21], -v[28:29]
	s_delay_alu instid0(VALU_DEP_2) | instskip(SKIP_1) | instid1(VALU_DEP_3)
	v_add_f64_e64 v[36:37], v[26:27], -v[30:31]
	v_add_f64_e64 v[24:25], v[24:25], -v[30:31]
	v_add_f64_e32 v[28:29], v[32:33], v[20:21]
	s_delay_alu instid0(VALU_DEP_3) | instskip(NEXT) | instid1(VALU_DEP_1)
	v_add_f64_e64 v[22:23], v[22:23], -v[36:37]
	v_add_f64_e32 v[22:23], v[24:25], v[22:23]
	s_delay_alu instid0(VALU_DEP_3) | instskip(NEXT) | instid1(VALU_DEP_2)
	v_add_f64_e64 v[24:25], v[28:29], -v[32:33]
	v_add_f64_e32 v[22:23], v[28:29], v[22:23]
	s_delay_alu instid0(VALU_DEP_2) | instskip(SKIP_1) | instid1(VALU_DEP_3)
	v_add_f64_e64 v[28:29], v[28:29], -v[24:25]
	v_add_f64_e64 v[20:21], v[20:21], -v[24:25]
	v_add_f64_e32 v[30:31], v[26:27], v[22:23]
	s_delay_alu instid0(VALU_DEP_3) | instskip(NEXT) | instid1(VALU_DEP_2)
	v_add_f64_e64 v[24:25], v[32:33], -v[28:29]
	v_add_f64_e64 v[26:27], v[30:31], -v[26:27]
	s_delay_alu instid0(VALU_DEP_2) | instskip(NEXT) | instid1(VALU_DEP_2)
	v_add_f64_e32 v[20:21], v[20:21], v[24:25]
	v_add_f64_e64 v[22:23], v[22:23], -v[26:27]
	s_delay_alu instid0(VALU_DEP_1) | instskip(NEXT) | instid1(VALU_DEP_1)
	v_add_f64_e32 v[20:21], v[20:21], v[22:23]
	v_add_f64_e32 v[22:23], v[30:31], v[20:21]
	s_delay_alu instid0(VALU_DEP_1) | instskip(SKIP_1) | instid1(VALU_DEP_2)
	v_add_f64_e64 v[24:25], v[22:23], -v[30:31]
	v_mul_f64_e32 v[26:27], v[18:19], v[22:23]
	v_add_f64_e64 v[20:21], v[20:21], -v[24:25]
	s_delay_alu instid0(VALU_DEP_2) | instskip(SKIP_1) | instid1(VALU_DEP_2)
	v_fma_f64 v[22:23], v[18:19], v[22:23], -v[26:27]
	v_cmp_class_f64_e64 vcc_lo, v[26:27], 0x204
	v_fmac_f64_e32 v[22:23], v[18:19], v[20:21]
	s_delay_alu instid0(VALU_DEP_1) | instskip(NEXT) | instid1(VALU_DEP_1)
	v_add_f64_e32 v[20:21], v[26:27], v[22:23]
	v_dual_cndmask_b32 v25, v21, v27 :: v_dual_cndmask_b32 v24, v20, v26
	v_add_f64_e64 v[20:21], v[20:21], -v[26:27]
	s_delay_alu instid0(VALU_DEP_2)
	v_mul_f64_e32 v[28:29], 0x3ff71547652b82fe, v[24:25]
	s_wait_xcnt 0x0
	v_cmp_nlt_f64_e64 s0, 0x40900000, v[24:25]
	v_cmp_neq_f64_e64 vcc_lo, 0x7ff00000, |v[24:25]|
	v_cmp_ngt_f64_e64 s1, 0xc090cc00, v[24:25]
	v_add_f64_e64 v[20:21], v[22:23], -v[20:21]
	v_trunc_f64_e32 v[22:23], v[18:19]
	v_rndne_f64_e32 v[28:29], v[28:29]
	s_delay_alu instid0(VALU_DEP_3) | instskip(SKIP_1) | instid1(VALU_DEP_2)
	v_dual_cndmask_b32 v21, 0, v21 :: v_dual_cndmask_b32 v20, 0, v20
	s_and_b32 vcc_lo, s1, s0
	v_fmamk_f64 v[30:31], v[28:29], 0xbfe62e42fefa39ef, v[24:25]
	v_cvt_i32_f64_e32 v7, v[28:29]
	s_delay_alu instid0(VALU_DEP_2) | instskip(NEXT) | instid1(VALU_DEP_1)
	v_fmac_f64_e32 v[30:31], 0xbc7abc9e3b39803f, v[28:29]
	v_fmamk_f64 v[32:33], v[30:31], 0x3e5ade156a5dcb37, v[10:11]
	s_delay_alu instid0(VALU_DEP_1) | instskip(NEXT) | instid1(VALU_DEP_1)
	v_fmaak_f64 v[32:33], v[30:31], v[32:33], 0x3ec71dee623fde64
	v_fmaak_f64 v[32:33], v[30:31], v[32:33], 0x3efa01997c89e6b0
	s_delay_alu instid0(VALU_DEP_1) | instskip(NEXT) | instid1(VALU_DEP_1)
	v_fmaak_f64 v[32:33], v[30:31], v[32:33], 0x3f2a01a014761f6e
	v_fmaak_f64 v[32:33], v[30:31], v[32:33], 0x3f56c16c1852b7b0
	;; [unrolled: 3-line block ×4, first 2 shown]
	s_delay_alu instid0(VALU_DEP_1) | instskip(NEXT) | instid1(VALU_DEP_1)
	v_fma_f64 v[32:33], v[30:31], v[32:33], 1.0
	v_fma_f64 v[28:29], v[30:31], v[32:33], 1.0
	s_delay_alu instid0(VALU_DEP_1) | instskip(SKIP_1) | instid1(VALU_DEP_2)
	v_ldexp_f64 v[26:27], v[28:29], v7
	v_mul_f64_e32 v[28:29], 0.5, v[18:19]
	v_cndmask_b32_e64 v7, 0x7ff00000, v27, s0
	s_delay_alu instid0(VALU_DEP_2) | instskip(NEXT) | instid1(VALU_DEP_4)
	v_trunc_f64_e32 v[24:25], v[28:29]
	v_cndmask_b32_e32 v26, 0, v26, vcc_lo
	v_cmp_eq_f64_e32 vcc_lo, v[22:23], v[18:19]
	v_cndmask_b32_e64 v23, 0x7ff00000, 0, s3
	v_cndmask_b32_e64 v27, 0, v7, s1
	v_cmp_neq_f64_e64 s3, |v[16:17]|, 1.0
	s_delay_alu instid0(VALU_DEP_2) | instskip(SKIP_2) | instid1(VALU_DEP_4)
	v_fma_f64 v[20:21], v[26:27], v[20:21], v[26:27]
	v_cmp_class_f64_e64 s1, v[26:27], 0x204
	v_cmp_neq_f64_e64 s0, v[24:25], v[28:29]
	v_cndmask_b32_e64 v23, 0x3ff00000, v23, s3
	s_delay_alu instid0(VALU_DEP_3) | instskip(SKIP_1) | instid1(VALU_DEP_2)
	v_dual_cndmask_b32 v21, v21, v27, s1 :: v_dual_cndmask_b32 v20, v20, v26, s1
	v_cmp_gt_f64_e64 s1, 0, v[18:19]
	v_cndmask_b32_e32 v22, 0, v20, vcc_lo
	s_and_b32 s0, vcc_lo, s0
	s_delay_alu instid0(SALU_CYCLE_1) | instskip(NEXT) | instid1(VALU_DEP_1)
	v_cndmask_b32_e64 v7, 0x3ff00000, v17, s0
	v_bfi_b32 v7, 0x7fffffff, v21, v7
	s_delay_alu instid0(VALU_DEP_1) | instskip(SKIP_2) | instid1(VALU_DEP_2)
	v_cndmask_b32_e32 v21, 0x7ff80000, v7, vcc_lo
	v_cmp_gt_f64_e32 vcc_lo, 0, v[16:17]
	s_xor_b32 s1, s1, s2
	v_dual_cndmask_b32 v20, v20, v22 :: v_dual_cndmask_b32 v7, v7, v21
	v_cmp_class_f64_e64 vcc_lo, v[18:19], 0x204
	v_cndmask_b32_e64 v21, 0x7ff00000, 0, s1
	v_cndmask_b32_e64 v22, 0, v17, s0
	s_or_b32 s0, s2, s18
	s_delay_alu instid0(VALU_DEP_1) | instskip(SKIP_1) | instid1(VALU_DEP_1)
	v_bfi_b32 v21, 0x7fffffff, v21, v22
                                        ; implicit-def: $vgpr22
	v_cndmask_b32_e32 v7, v7, v23, vcc_lo
	v_cndmask_b32_e64 v7, v7, v21, s0
	s_or_b32 s0, s0, vcc_lo
	v_cmp_o_f64_e32 vcc_lo, v[16:17], v[18:19]
	v_cndmask_b32_e64 v20, v20, 0, s0
                                        ; implicit-def: $vgpr18_vgpr19
	s_delay_alu instid0(VALU_DEP_1) | instskip(SKIP_1) | instid1(VALU_DEP_1)
	v_cndmask_b32_e32 v16, 0, v20, vcc_lo
	v_cndmask_b32_e32 v17, 0x7ff80000, v7, vcc_lo
                                        ; implicit-def: $vgpr20_vgpr21
	v_cmp_ngt_f64_e64 s0, 0x41d00000, |v[16:17]|
	s_and_saveexec_b32 s1, s0
	s_delay_alu instid0(SALU_CYCLE_1)
	s_xor_b32 s0, exec_lo, s1
	s_cbranch_execz .LBB2_6
; %bb.5:                                ;   in Loop: Header=BB2_4 Depth=1
	v_ldexp_f64 v[18:19], |v[16:17]|, 0xffffff80
	v_cmp_le_f64_e64 vcc_lo, 0x7b000000, |v[16:17]|
	v_trig_preop_f64 v[20:21], |v[16:17]|, 0
	v_and_b32_e32 v7, 0x7fffffff, v17
	v_trig_preop_f64 v[22:23], |v[16:17]|, 1
	v_trig_preop_f64 v[32:33], |v[16:17]|, 2
	s_delay_alu instid0(VALU_DEP_3) | instskip(NEXT) | instid1(VALU_DEP_1)
	v_dual_cndmask_b32 v19, v7, v19 :: v_dual_cndmask_b32 v18, v16, v18
	v_mul_f64_e32 v[24:25], v[20:21], v[18:19]
	s_delay_alu instid0(VALU_DEP_4) | instskip(NEXT) | instid1(VALU_DEP_4)
	v_mul_f64_e32 v[26:27], v[22:23], v[18:19]
	v_mul_f64_e32 v[38:39], v[32:33], v[18:19]
	s_delay_alu instid0(VALU_DEP_3) | instskip(NEXT) | instid1(VALU_DEP_3)
	v_fma_f64 v[20:21], v[20:21], v[18:19], -v[24:25]
	v_fma_f64 v[22:23], v[22:23], v[18:19], -v[26:27]
	s_delay_alu instid0(VALU_DEP_3) | instskip(NEXT) | instid1(VALU_DEP_3)
	v_fma_f64 v[18:19], v[32:33], v[18:19], -v[38:39]
	v_add_f64_e32 v[28:29], v[26:27], v[20:21]
	s_delay_alu instid0(VALU_DEP_1) | instskip(SKIP_1) | instid1(VALU_DEP_2)
	v_add_f64_e64 v[30:31], v[28:29], -v[26:27]
	v_add_f64_e32 v[36:37], v[24:25], v[28:29]
	v_add_f64_e64 v[34:35], v[28:29], -v[30:31]
	v_add_f64_e64 v[20:21], v[20:21], -v[30:31]
	s_delay_alu instid0(VALU_DEP_3) | instskip(NEXT) | instid1(VALU_DEP_3)
	v_ldexp_f64 v[30:31], v[36:37], -2
	v_add_f64_e64 v[26:27], v[26:27], -v[34:35]
	v_add_f64_e32 v[34:35], v[38:39], v[22:23]
	s_delay_alu instid0(VALU_DEP_3) | instskip(NEXT) | instid1(VALU_DEP_3)
	v_cmp_neq_f64_e64 vcc_lo, 0x7ff00000, |v[30:31]|
	v_add_f64_e32 v[20:21], v[20:21], v[26:27]
	v_fract_f64_e32 v[26:27], v[30:31]
	s_delay_alu instid0(VALU_DEP_1) | instskip(NEXT) | instid1(VALU_DEP_1)
	v_ldexp_f64 v[26:27], v[26:27], 2
	v_dual_add_f64 v[24:25], v[36:37], -v[24:25] :: v_dual_cndmask_b32 v26, 0, v26, vcc_lo
	s_delay_alu instid0(VALU_DEP_1) | instskip(SKIP_1) | instid1(VALU_DEP_1)
	v_dual_add_f64 v[24:25], v[28:29], -v[24:25] :: v_dual_cndmask_b32 v27, 0, v27, vcc_lo
	v_add_f64_e32 v[28:29], v[34:35], v[20:21]
	v_add_f64_e32 v[30:31], v[24:25], v[28:29]
	v_add_f64_e64 v[40:41], v[28:29], -v[34:35]
	s_delay_alu instid0(VALU_DEP_2) | instskip(NEXT) | instid1(VALU_DEP_2)
	v_add_f64_e32 v[36:37], v[30:31], v[26:27]
	v_add_f64_e64 v[46:47], v[28:29], -v[40:41]
	v_add_f64_e64 v[20:21], v[20:21], -v[40:41]
	;; [unrolled: 1-line block ×3, first 2 shown]
	s_delay_alu instid0(VALU_DEP_4) | instskip(SKIP_2) | instid1(VALU_DEP_2)
	v_cmp_gt_f64_e32 vcc_lo, 0, v[36:37]
	v_add_f64_e64 v[36:37], v[34:35], -v[38:39]
	v_cndmask_b32_e64 v7, 0, 0x40100000, vcc_lo
	v_add_f64_e64 v[44:45], v[34:35], -v[36:37]
	v_add_f64_e64 v[22:23], v[22:23], -v[36:37]
	;; [unrolled: 1-line block ×3, first 2 shown]
	s_delay_alu instid0(VALU_DEP_4) | instskip(NEXT) | instid1(VALU_DEP_4)
	v_add_f64_e32 v[26:27], v[26:27], v[6:7]
	v_add_f64_e64 v[36:37], v[38:39], -v[44:45]
	s_delay_alu instid0(VALU_DEP_3) | instskip(NEXT) | instid1(VALU_DEP_3)
	v_add_f64_e32 v[20:21], v[20:21], v[34:35]
	v_add_f64_e32 v[42:43], v[30:31], v[26:27]
	s_delay_alu instid0(VALU_DEP_3) | instskip(NEXT) | instid1(VALU_DEP_2)
	v_add_f64_e32 v[22:23], v[22:23], v[36:37]
	v_cvt_i32_f64_e32 v7, v[42:43]
	s_delay_alu instid0(VALU_DEP_2) | instskip(SKIP_1) | instid1(VALU_DEP_3)
	v_add_f64_e32 v[20:21], v[22:23], v[20:21]
	v_add_f64_e64 v[22:23], v[28:29], -v[24:25]
	v_cvt_f64_i32_e32 v[40:41], v7
	s_delay_alu instid0(VALU_DEP_3) | instskip(NEXT) | instid1(VALU_DEP_2)
	v_add_f64_e32 v[18:19], v[18:19], v[20:21]
	v_add_f64_e64 v[26:27], v[26:27], -v[40:41]
	s_delay_alu instid0(VALU_DEP_2) | instskip(NEXT) | instid1(VALU_DEP_2)
	v_add_f64_e32 v[18:19], v[22:23], v[18:19]
	v_add_f64_e32 v[32:33], v[30:31], v[26:27]
	s_delay_alu instid0(VALU_DEP_1) | instskip(SKIP_1) | instid1(VALU_DEP_2)
	v_add_f64_e64 v[20:21], v[32:33], -v[26:27]
	v_cmp_le_f64_e32 vcc_lo, 0.5, v[32:33]
	v_add_f64_e64 v[20:21], v[30:31], -v[20:21]
	v_add_co_ci_u32_e64 v22, null, 0, v7, vcc_lo
	v_cndmask_b32_e64 v7, 0, 0x3ff00000, vcc_lo
	s_delay_alu instid0(VALU_DEP_3) | instskip(NEXT) | instid1(VALU_DEP_2)
	v_add_f64_e32 v[18:19], v[18:19], v[20:21]
	v_add_f64_e64 v[20:21], v[32:33], -v[6:7]
	s_delay_alu instid0(VALU_DEP_1) | instskip(NEXT) | instid1(VALU_DEP_1)
	v_add_f64_e32 v[24:25], v[20:21], v[18:19]
	v_mul_f64_e32 v[26:27], 0x3ff921fb54442d18, v[24:25]
	v_add_f64_e64 v[20:21], v[24:25], -v[20:21]
	s_delay_alu instid0(VALU_DEP_2) | instskip(NEXT) | instid1(VALU_DEP_2)
	v_fma_f64 v[28:29], v[24:25], s[8:9], -v[26:27]
	v_add_f64_e64 v[18:19], v[18:19], -v[20:21]
	s_delay_alu instid0(VALU_DEP_2) | instskip(NEXT) | instid1(VALU_DEP_1)
	v_fmac_f64_e32 v[28:29], 0x3c91a62633145c07, v[24:25]
	v_fmac_f64_e32 v[28:29], 0x3ff921fb54442d18, v[18:19]
	s_delay_alu instid0(VALU_DEP_1) | instskip(NEXT) | instid1(VALU_DEP_1)
	v_add_f64_e32 v[18:19], v[26:27], v[28:29]
	v_add_f64_e64 v[20:21], v[18:19], -v[26:27]
	s_delay_alu instid0(VALU_DEP_1)
	v_add_f64_e64 v[20:21], v[28:29], -v[20:21]
.LBB2_6:                                ;   in Loop: Header=BB2_4 Depth=1
	s_and_not1_saveexec_b32 s0, s0
	s_cbranch_execz .LBB2_3
; %bb.7:                                ;   in Loop: Header=BB2_4 Depth=1
	v_mul_f64_e64 v[18:19], |v[16:17]|, s[10:11]
	s_delay_alu instid0(VALU_DEP_1) | instskip(NEXT) | instid1(VALU_DEP_1)
	v_rndne_f64_e32 v[22:23], v[18:19]
	v_fma_f64 v[18:19], v[22:23], s[12:13], |v[16:17]|
	v_mul_f64_e32 v[20:21], 0xbc91a62633145c00, v[22:23]
	s_delay_alu instid0(VALU_DEP_2) | instskip(NEXT) | instid1(VALU_DEP_2)
	v_fmamk_f64 v[28:29], v[22:23], 0xbc91a62633145c00, v[18:19]
	v_add_f64_e32 v[24:25], v[18:19], v[20:21]
	s_delay_alu instid0(VALU_DEP_1) | instskip(NEXT) | instid1(VALU_DEP_3)
	v_add_f64_e64 v[26:27], v[18:19], -v[24:25]
	v_add_f64_e64 v[18:19], v[24:25], -v[28:29]
	s_delay_alu instid0(VALU_DEP_2) | instskip(SKIP_1) | instid1(VALU_DEP_2)
	v_add_f64_e32 v[24:25], v[26:27], v[20:21]
	v_fmamk_f64 v[20:21], v[22:23], 0x3c91a62633145c00, v[20:21]
	v_add_f64_e32 v[18:19], v[18:19], v[24:25]
	s_delay_alu instid0(VALU_DEP_1) | instskip(NEXT) | instid1(VALU_DEP_1)
	v_add_f64_e64 v[20:21], v[18:19], -v[20:21]
	v_fmac_f64_e32 v[20:21], 0xb97b839a252049c0, v[22:23]
	v_cvt_i32_f64_e32 v22, v[22:23]
	s_delay_alu instid0(VALU_DEP_2) | instskip(NEXT) | instid1(VALU_DEP_1)
	v_add_f64_e32 v[18:19], v[28:29], v[20:21]
	v_add_f64_e64 v[24:25], v[18:19], -v[28:29]
	s_delay_alu instid0(VALU_DEP_1)
	v_add_f64_e64 v[20:21], v[20:21], -v[24:25]
	s_branch .LBB2_3
.LBB2_8:
	s_or_b32 exec_lo, exec_lo, s17
	v_cvt_f64_i32_e32 v[0:1], s14
	s_mov_b32 s0, exec_lo
	s_delay_alu instid0(VALU_DEP_1)
	v_cmpx_eq_f64_e32 v[2:3], v[0:1]
	s_cbranch_execz .LBB2_10
; %bb.9:
	global_store_b64 v[4:5], v[2:3], off
.LBB2_10:
	s_endpgm
	.section	.rodata,"a",@progbits
	.p2align	6, 0x0
	.amdhsa_kernel _Z8ldsboundiPd
		.amdhsa_group_segment_fixed_size 65536
		.amdhsa_private_segment_fixed_size 0
		.amdhsa_kernarg_size 272
		.amdhsa_user_sgpr_count 2
		.amdhsa_user_sgpr_dispatch_ptr 0
		.amdhsa_user_sgpr_queue_ptr 0
		.amdhsa_user_sgpr_kernarg_segment_ptr 1
		.amdhsa_user_sgpr_dispatch_id 0
		.amdhsa_user_sgpr_kernarg_preload_length 0
		.amdhsa_user_sgpr_kernarg_preload_offset 0
		.amdhsa_user_sgpr_private_segment_size 0
		.amdhsa_wavefront_size32 1
		.amdhsa_uses_dynamic_stack 0
		.amdhsa_enable_private_segment 0
		.amdhsa_system_sgpr_workgroup_id_x 1
		.amdhsa_system_sgpr_workgroup_id_y 0
		.amdhsa_system_sgpr_workgroup_id_z 0
		.amdhsa_system_sgpr_workgroup_info 0
		.amdhsa_system_vgpr_workitem_id 0
		.amdhsa_next_free_vgpr 81
		.amdhsa_next_free_sgpr 19
		.amdhsa_named_barrier_count 0
		.amdhsa_reserve_vcc 1
		.amdhsa_float_round_mode_32 0
		.amdhsa_float_round_mode_16_64 0
		.amdhsa_float_denorm_mode_32 3
		.amdhsa_float_denorm_mode_16_64 3
		.amdhsa_fp16_overflow 0
		.amdhsa_memory_ordered 1
		.amdhsa_forward_progress 1
		.amdhsa_inst_pref_size 26
		.amdhsa_round_robin_scheduling 0
		.amdhsa_exception_fp_ieee_invalid_op 0
		.amdhsa_exception_fp_denorm_src 0
		.amdhsa_exception_fp_ieee_div_zero 0
		.amdhsa_exception_fp_ieee_overflow 0
		.amdhsa_exception_fp_ieee_underflow 0
		.amdhsa_exception_fp_ieee_inexact 0
		.amdhsa_exception_int_div_zero 0
	.end_amdhsa_kernel
	.text
.Lfunc_end2:
	.size	_Z8ldsboundiPd, .Lfunc_end2-_Z8ldsboundiPd
                                        ; -- End function
	.set _Z8ldsboundiPd.num_vgpr, 48
	.set _Z8ldsboundiPd.num_agpr, 0
	.set _Z8ldsboundiPd.numbered_sgpr, 19
	.set _Z8ldsboundiPd.num_named_barrier, 0
	.set _Z8ldsboundiPd.private_seg_size, 0
	.set _Z8ldsboundiPd.uses_vcc, 1
	.set _Z8ldsboundiPd.uses_flat_scratch, 0
	.set _Z8ldsboundiPd.has_dyn_sized_stack, 0
	.set _Z8ldsboundiPd.has_recursion, 0
	.set _Z8ldsboundiPd.has_indirect_call, 0
	.section	.AMDGPU.csdata,"",@progbits
; Kernel info:
; codeLenInByte = 3204
; TotalNumSgprs: 21
; NumVgprs: 48
; ScratchSize: 0
; MemoryBound: 0
; FloatMode: 240
; IeeeMode: 1
; LDSByteSize: 65536 bytes/workgroup (compile time only)
; SGPRBlocks: 0
; VGPRBlocks: 5
; NumSGPRsForWavesPerEU: 21
; NumVGPRsForWavesPerEU: 81
; NamedBarCnt: 0
; Occupancy: 10
; WaveLimiterHint : 0
; COMPUTE_PGM_RSRC2:SCRATCH_EN: 0
; COMPUTE_PGM_RSRC2:USER_SGPR: 2
; COMPUTE_PGM_RSRC2:TRAP_HANDLER: 0
; COMPUTE_PGM_RSRC2:TGID_X_EN: 1
; COMPUTE_PGM_RSRC2:TGID_Y_EN: 0
; COMPUTE_PGM_RSRC2:TGID_Z_EN: 0
; COMPUTE_PGM_RSRC2:TIDIG_COMP_CNT: 0
	.text
	.protected	_Z9sgprboundiPd         ; -- Begin function _Z9sgprboundiPd
	.globl	_Z9sgprboundiPd
	.p2align	8
	.type	_Z9sgprboundiPd,@function
_Z9sgprboundiPd:                        ; @_Z9sgprboundiPd
; %bb.0:
	s_load_b64 s[6:7], s[0:1], 0x8
	v_mov_b64_e32 v[10:11], 0
	v_mov_b64_e32 v[0:1], 0x3fba6564968915a9
	;; [unrolled: 1-line block ×5, first 2 shown]
	s_mov_b64 s[8:9], 0x3fe5555555555555
	s_mov_b64 s[10:11], 0x3fe62e42fefa39ef
	;; [unrolled: 1-line block ×5, first 2 shown]
	s_movk_i32 s5, 0x64
	s_mov_b32 s18, 0
                                        ; implicit-def: $vgpr12_vgpr13
                                        ; implicit-def: $vgpr12_vgpr13
	;; [unrolled: 1-line block ×22, first 2 shown]
	s_wait_kmcnt 0x0
	s_load_b64 s[2:3], s[6:7], 0x0
	s_wait_kmcnt 0x0
	v_mov_b64_e32 v[4:5], s[2:3]
.LBB3_1:                                ; =>This Inner Loop Header: Depth=1
	s_delay_alu instid0(VALU_DEP_1) | instskip(SKIP_2) | instid1(VALU_DEP_1)
	v_cmp_neq_f64_e32 vcc_lo, 0, v[10:11]
	v_cndmask_b32_e32 v13, 0x3ff00000, v11, vcc_lo
	v_cndmask_b32_e32 v12, 0, v10, vcc_lo
	v_frexp_mant_f64_e64 v[14:15], |v[12:13]|
	s_delay_alu instid0(VALU_DEP_1) | instskip(SKIP_1) | instid1(VALU_DEP_1)
	v_cmp_gt_f64_e32 vcc_lo, s[8:9], v[14:15]
	v_cndmask_b32_e64 v16, 0, 1, vcc_lo
	v_ldexp_f64 v[14:15], v[14:15], v16
	s_delay_alu instid0(VALU_DEP_1) | instskip(SKIP_1) | instid1(VALU_DEP_2)
	v_add_f64_e32 v[16:17], 1.0, v[14:15]
	v_add_f64_e32 v[22:23], -1.0, v[14:15]
	v_rcp_f64_e32 v[18:19], v[16:17]
	v_add_f64_e32 v[24:25], -1.0, v[16:17]
	v_cmp_lt_f64_e64 s21, |v[12:13]|, 1.0
	v_cmp_neq_f64_e64 s22, |v[12:13]|, 1.0
	s_delay_alu instid0(VALU_DEP_3) | instskip(NEXT) | instid1(TRANS32_DEP_1)
	v_add_f64_e64 v[14:15], v[14:15], -v[24:25]
	v_fma_f64 v[20:21], -v[16:17], v[18:19], 1.0
	s_delay_alu instid0(VALU_DEP_1) | instskip(NEXT) | instid1(VALU_DEP_1)
	v_fmac_f64_e32 v[18:19], v[20:21], v[18:19]
	v_fma_f64 v[20:21], -v[16:17], v[18:19], 1.0
	s_delay_alu instid0(VALU_DEP_1) | instskip(NEXT) | instid1(VALU_DEP_1)
	v_fmac_f64_e32 v[18:19], v[20:21], v[18:19]
	v_mul_f64_e32 v[20:21], v[22:23], v[18:19]
	s_delay_alu instid0(VALU_DEP_1) | instskip(NEXT) | instid1(VALU_DEP_1)
	v_mul_f64_e32 v[26:27], v[16:17], v[20:21]
	v_fma_f64 v[16:17], v[20:21], v[16:17], -v[26:27]
	s_delay_alu instid0(VALU_DEP_1) | instskip(NEXT) | instid1(VALU_DEP_1)
	v_fmac_f64_e32 v[16:17], v[20:21], v[14:15]
	v_add_f64_e32 v[14:15], v[26:27], v[16:17]
	s_delay_alu instid0(VALU_DEP_1) | instskip(SKIP_1) | instid1(VALU_DEP_2)
	v_add_f64_e64 v[24:25], v[22:23], -v[14:15]
	v_add_f64_e64 v[26:27], v[14:15], -v[26:27]
	;; [unrolled: 1-line block ×3, first 2 shown]
	s_delay_alu instid0(VALU_DEP_2) | instskip(NEXT) | instid1(VALU_DEP_2)
	v_add_f64_e64 v[16:17], v[26:27], -v[16:17]
	v_add_f64_e64 v[14:15], v[22:23], -v[14:15]
	s_delay_alu instid0(VALU_DEP_1) | instskip(NEXT) | instid1(VALU_DEP_1)
	v_add_f64_e32 v[14:15], v[16:17], v[14:15]
	v_add_f64_e32 v[14:15], v[24:25], v[14:15]
	s_delay_alu instid0(VALU_DEP_1) | instskip(NEXT) | instid1(VALU_DEP_1)
	v_mul_f64_e32 v[14:15], v[18:19], v[14:15]
	v_add_f64_e32 v[16:17], v[20:21], v[14:15]
	s_delay_alu instid0(VALU_DEP_1) | instskip(SKIP_1) | instid1(VALU_DEP_2)
	v_add_f64_e64 v[18:19], v[16:17], -v[20:21]
	v_mul_f64_e32 v[20:21], v[16:17], v[16:17]
	v_add_f64_e64 v[14:15], v[14:15], -v[18:19]
	s_delay_alu instid0(VALU_DEP_2) | instskip(NEXT) | instid1(VALU_DEP_2)
	v_fma_f64 v[18:19], v[16:17], v[16:17], -v[20:21]
	v_add_f64_e32 v[22:23], v[14:15], v[14:15]
	s_delay_alu instid0(VALU_DEP_1) | instskip(NEXT) | instid1(VALU_DEP_1)
	v_fmac_f64_e32 v[18:19], v[16:17], v[22:23]
	v_add_f64_e32 v[22:23], v[20:21], v[18:19]
	s_delay_alu instid0(VALU_DEP_1) | instskip(SKIP_2) | instid1(VALU_DEP_3)
	v_fmamk_f64 v[24:25], v[22:23], 0x3fbdee674222de17, v[0:1]
	v_add_f64_e64 v[20:21], v[22:23], -v[20:21]
	v_mul_f64_e32 v[30:31], v[16:17], v[22:23]
	v_fmaak_f64 v[24:25], v[22:23], v[24:25], 0x3fbe25e43abe935a
	s_delay_alu instid0(VALU_DEP_1) | instskip(NEXT) | instid1(VALU_DEP_1)
	v_fmaak_f64 v[24:25], v[22:23], v[24:25], 0x3fc110ef47e6c9c2
	v_fmaak_f64 v[24:25], v[22:23], v[24:25], 0x3fc3b13bcfa74449
	s_delay_alu instid0(VALU_DEP_1) | instskip(SKIP_1) | instid1(VALU_DEP_2)
	v_fmaak_f64 v[24:25], v[22:23], v[24:25], 0x3fc745d171bf3c30
	v_add_f64_e64 v[18:19], v[18:19], -v[20:21]
	v_fmaak_f64 v[24:25], v[22:23], v[24:25], 0x3fcc71c71c7792ce
	s_delay_alu instid0(VALU_DEP_1) | instskip(NEXT) | instid1(VALU_DEP_1)
	v_fmaak_f64 v[24:25], v[22:23], v[24:25], 0x3fd24924924920da
	v_fmaak_f64 v[24:25], v[22:23], v[24:25], 0x3fd999999999999c
	s_delay_alu instid0(VALU_DEP_1) | instskip(NEXT) | instid1(VALU_DEP_1)
	v_mul_f64_e32 v[26:27], v[22:23], v[24:25]
	v_fma_f64 v[20:21], v[22:23], v[24:25], -v[26:27]
	s_delay_alu instid0(VALU_DEP_1) | instskip(NEXT) | instid1(VALU_DEP_1)
	v_fmac_f64_e32 v[20:21], v[18:19], v[24:25]
	v_add_f64_e32 v[24:25], v[26:27], v[20:21]
	s_delay_alu instid0(VALU_DEP_1) | instskip(SKIP_1) | instid1(VALU_DEP_2)
	v_add_f64_e32 v[28:29], 0x3fe5555555555555, v[24:25]
	v_add_f64_e64 v[26:27], v[24:25], -v[26:27]
	v_add_f64_e32 v[32:33], 0xbfe5555555555555, v[28:29]
	s_delay_alu instid0(VALU_DEP_2) | instskip(SKIP_1) | instid1(VALU_DEP_3)
	v_add_f64_e64 v[20:21], v[20:21], -v[26:27]
	v_fma_f64 v[26:27], v[22:23], v[16:17], -v[30:31]
	v_add_f64_e64 v[24:25], v[24:25], -v[32:33]
	s_delay_alu instid0(VALU_DEP_3) | instskip(NEXT) | instid1(VALU_DEP_3)
	v_add_f64_e32 v[20:21], 0x3c8543b0d5df274d, v[20:21]
	v_fmac_f64_e32 v[26:27], v[22:23], v[14:15]
	v_ldexp_f64 v[14:15], v[14:15], 1
	s_delay_alu instid0(VALU_DEP_3) | instskip(NEXT) | instid1(VALU_DEP_3)
	v_add_f64_e32 v[20:21], v[20:21], v[24:25]
	v_fmac_f64_e32 v[26:27], v[18:19], v[16:17]
	v_ldexp_f64 v[16:17], v[16:17], 1
	s_delay_alu instid0(VALU_DEP_3) | instskip(NEXT) | instid1(VALU_DEP_3)
	v_add_f64_e32 v[18:19], v[28:29], v[20:21]
	v_add_f64_e32 v[22:23], v[30:31], v[26:27]
	s_delay_alu instid0(VALU_DEP_2) | instskip(NEXT) | instid1(VALU_DEP_2)
	v_add_f64_e64 v[24:25], v[28:29], -v[18:19]
	v_mul_f64_e32 v[28:29], v[22:23], v[18:19]
	v_add_f64_e64 v[30:31], v[22:23], -v[30:31]
	s_delay_alu instid0(VALU_DEP_3) | instskip(NEXT) | instid1(VALU_DEP_3)
	v_add_f64_e32 v[20:21], v[20:21], v[24:25]
	v_fma_f64 v[24:25], v[22:23], v[18:19], -v[28:29]
	s_delay_alu instid0(VALU_DEP_3) | instskip(NEXT) | instid1(VALU_DEP_2)
	v_add_f64_e64 v[26:27], v[26:27], -v[30:31]
	v_fmac_f64_e32 v[24:25], v[22:23], v[20:21]
	v_frexp_exp_i32_f64_e32 v20, v[12:13]
	s_delay_alu instid0(VALU_DEP_2) | instskip(NEXT) | instid1(VALU_DEP_2)
	v_fmac_f64_e32 v[24:25], v[26:27], v[18:19]
	v_subrev_co_ci_u32_e64 v20, null, 0, v20, vcc_lo
	s_delay_alu instid0(VALU_DEP_1) | instskip(NEXT) | instid1(VALU_DEP_3)
	v_cvt_f64_i32_e32 v[20:21], v20
	v_add_f64_e32 v[18:19], v[28:29], v[24:25]
	s_delay_alu instid0(VALU_DEP_1) | instskip(SKIP_1) | instid1(VALU_DEP_4)
	v_add_f64_e32 v[22:23], v[16:17], v[18:19]
	v_add_f64_e64 v[26:27], v[18:19], -v[28:29]
	v_mul_f64_e32 v[28:29], 0x3fe62e42fefa39ef, v[20:21]
	s_delay_alu instid0(VALU_DEP_3) | instskip(NEXT) | instid1(VALU_DEP_3)
	v_add_f64_e64 v[16:17], v[22:23], -v[16:17]
	v_add_f64_e64 v[24:25], v[24:25], -v[26:27]
	s_delay_alu instid0(VALU_DEP_3) | instskip(NEXT) | instid1(VALU_DEP_3)
	v_fma_f64 v[26:27], v[20:21], s[10:11], -v[28:29]
	v_add_f64_e64 v[16:17], v[18:19], -v[16:17]
	s_delay_alu instid0(VALU_DEP_3) | instskip(NEXT) | instid1(VALU_DEP_3)
	v_add_f64_e32 v[14:15], v[14:15], v[24:25]
	v_fmac_f64_e32 v[26:27], 0x3c7abc9e3b39803f, v[20:21]
	s_delay_alu instid0(VALU_DEP_2) | instskip(NEXT) | instid1(VALU_DEP_2)
	v_add_f64_e32 v[14:15], v[14:15], v[16:17]
	v_add_f64_e32 v[16:17], v[28:29], v[26:27]
	s_delay_alu instid0(VALU_DEP_2) | instskip(NEXT) | instid1(VALU_DEP_2)
	v_add_f64_e32 v[18:19], v[22:23], v[14:15]
	v_add_f64_e64 v[28:29], v[16:17], -v[28:29]
	s_delay_alu instid0(VALU_DEP_2) | instskip(SKIP_1) | instid1(VALU_DEP_3)
	v_add_f64_e32 v[20:21], v[16:17], v[18:19]
	v_add_f64_e64 v[22:23], v[18:19], -v[22:23]
	v_add_f64_e64 v[26:27], v[26:27], -v[28:29]
	s_delay_alu instid0(VALU_DEP_3) | instskip(NEXT) | instid1(VALU_DEP_3)
	v_add_f64_e64 v[24:25], v[20:21], -v[16:17]
	v_add_f64_e64 v[14:15], v[14:15], -v[22:23]
	s_delay_alu instid0(VALU_DEP_2) | instskip(SKIP_1) | instid1(VALU_DEP_3)
	v_add_f64_e64 v[30:31], v[20:21], -v[24:25]
	v_add_f64_e64 v[18:19], v[18:19], -v[24:25]
	v_add_f64_e32 v[22:23], v[26:27], v[14:15]
	s_delay_alu instid0(VALU_DEP_3) | instskip(NEXT) | instid1(VALU_DEP_1)
	v_add_f64_e64 v[16:17], v[16:17], -v[30:31]
	v_add_f64_e32 v[16:17], v[18:19], v[16:17]
	s_delay_alu instid0(VALU_DEP_3) | instskip(NEXT) | instid1(VALU_DEP_2)
	v_add_f64_e64 v[18:19], v[22:23], -v[26:27]
	v_add_f64_e32 v[16:17], v[22:23], v[16:17]
	s_delay_alu instid0(VALU_DEP_2) | instskip(SKIP_1) | instid1(VALU_DEP_3)
	v_add_f64_e64 v[22:23], v[22:23], -v[18:19]
	v_add_f64_e64 v[14:15], v[14:15], -v[18:19]
	v_add_f64_e32 v[24:25], v[20:21], v[16:17]
	s_delay_alu instid0(VALU_DEP_3) | instskip(NEXT) | instid1(VALU_DEP_2)
	v_add_f64_e64 v[18:19], v[26:27], -v[22:23]
	v_add_f64_e64 v[20:21], v[24:25], -v[20:21]
	s_delay_alu instid0(VALU_DEP_2) | instskip(NEXT) | instid1(VALU_DEP_2)
	v_add_f64_e32 v[14:15], v[14:15], v[18:19]
	v_add_f64_e64 v[16:17], v[16:17], -v[20:21]
	s_delay_alu instid0(VALU_DEP_1) | instskip(NEXT) | instid1(VALU_DEP_1)
	v_add_f64_e32 v[14:15], v[14:15], v[16:17]
	v_add_f64_e32 v[16:17], v[24:25], v[14:15]
	s_delay_alu instid0(VALU_DEP_1) | instskip(SKIP_1) | instid1(VALU_DEP_2)
	v_add_f64_e64 v[18:19], v[16:17], -v[24:25]
	v_mul_f64_e32 v[20:21], v[10:11], v[16:17]
	v_add_f64_e64 v[14:15], v[14:15], -v[18:19]
	s_delay_alu instid0(VALU_DEP_2) | instskip(SKIP_1) | instid1(VALU_DEP_2)
	v_fma_f64 v[16:17], v[10:11], v[16:17], -v[20:21]
	v_cmp_class_f64_e64 vcc_lo, v[20:21], 0x204
	v_fmac_f64_e32 v[16:17], v[10:11], v[14:15]
	s_delay_alu instid0(VALU_DEP_1) | instskip(NEXT) | instid1(VALU_DEP_1)
	v_add_f64_e32 v[14:15], v[20:21], v[16:17]
	v_dual_cndmask_b32 v19, v15, v21 :: v_dual_cndmask_b32 v18, v14, v20
	v_add_f64_e64 v[14:15], v[14:15], -v[20:21]
	v_mul_f64_e32 v[20:21], 0.5, v[10:11]
	s_delay_alu instid0(VALU_DEP_3)
	v_mul_f64_e32 v[22:23], 0x3ff71547652b82fe, v[18:19]
	v_cmp_nlt_f64_e32 vcc_lo, 0x40900000, v[18:19]
	v_cmp_ngt_f64_e64 s2, 0xc090cc00, v[18:19]
	v_cmp_neq_f64_e64 s3, 0x7ff00000, |v[18:19]|
	v_add_f64_e64 v[14:15], v[16:17], -v[14:15]
	v_trunc_f64_e32 v[16:17], v[10:11]
	v_rndne_f64_e32 v[22:23], v[22:23]
	s_delay_alu instid0(VALU_DEP_3) | instskip(NEXT) | instid1(VALU_DEP_2)
	v_dual_cndmask_b32 v15, 0, v15, s3 :: v_dual_cndmask_b32 v14, 0, v14, s3
	v_fmamk_f64 v[24:25], v[22:23], 0xbfe62e42fefa39ef, v[18:19]
	v_cvt_i32_f64_e32 v28, v[22:23]
	v_trunc_f64_e32 v[18:19], v[20:21]
	s_delay_alu instid0(VALU_DEP_3) | instskip(NEXT) | instid1(VALU_DEP_2)
	v_fmac_f64_e32 v[24:25], 0xbc7abc9e3b39803f, v[22:23]
	v_cmp_neq_f64_e64 s3, v[18:19], v[20:21]
	s_delay_alu instid0(VALU_DEP_2) | instskip(NEXT) | instid1(VALU_DEP_1)
	v_fmamk_f64 v[26:27], v[24:25], 0x3e5ade156a5dcb37, v[2:3]
	v_fmaak_f64 v[26:27], v[24:25], v[26:27], 0x3ec71dee623fde64
	s_delay_alu instid0(VALU_DEP_1) | instskip(NEXT) | instid1(VALU_DEP_1)
	v_fmaak_f64 v[26:27], v[24:25], v[26:27], 0x3efa01997c89e6b0
	v_fmaak_f64 v[26:27], v[24:25], v[26:27], 0x3f2a01a014761f6e
	s_delay_alu instid0(VALU_DEP_1) | instskip(NEXT) | instid1(VALU_DEP_1)
	v_fmaak_f64 v[26:27], v[24:25], v[26:27], 0x3f56c16c1852b7b0
	v_fmaak_f64 v[26:27], v[24:25], v[26:27], 0x3f81111111122322
	s_delay_alu instid0(VALU_DEP_1) | instskip(NEXT) | instid1(VALU_DEP_1)
	v_fmaak_f64 v[26:27], v[24:25], v[26:27], 0x3fa55555555502a1
	v_fmaak_f64 v[26:27], v[24:25], v[26:27], 0x3fc5555555555511
	s_delay_alu instid0(VALU_DEP_1) | instskip(NEXT) | instid1(VALU_DEP_1)
	v_fmaak_f64 v[26:27], v[24:25], v[26:27], 0x3fe000000000000b
	v_fma_f64 v[26:27], v[24:25], v[26:27], 1.0
	s_delay_alu instid0(VALU_DEP_1) | instskip(NEXT) | instid1(VALU_DEP_1)
	v_fma_f64 v[22:23], v[24:25], v[26:27], 1.0
	v_ldexp_f64 v[22:23], v[22:23], v28
	s_delay_alu instid0(VALU_DEP_1) | instskip(NEXT) | instid1(VALU_DEP_2)
	v_cndmask_b32_e32 v23, 0x7ff00000, v23, vcc_lo
	v_readfirstlane_b32 s4, v22
	s_delay_alu instid0(VALU_DEP_2) | instskip(SKIP_1) | instid1(SALU_CYCLE_1)
	v_cndmask_b32_e64 v23, 0, v23, s2
	s_and_b32 s2, s2, vcc_lo
	s_and_b32 s2, s2, exec_lo
	s_cselect_b32 s4, s4, 0
	v_cmp_eq_f64_e64 s2, v[16:17], v[10:11]
	v_mov_b32_e32 v22, s4
	s_delay_alu instid0(VALU_DEP_1) | instskip(SKIP_1) | instid1(VALU_DEP_2)
	v_fma_f64 v[14:15], v[22:23], v[14:15], v[22:23]
	v_cmp_class_f64_e64 vcc_lo, v[22:23], 0x204
	v_readfirstlane_b32 s19, v14
	s_and_b32 s20, vcc_lo, exec_lo
	v_cndmask_b32_e32 v14, v15, v23, vcc_lo
	v_cmp_neq_f64_e64 s20, v[10:11], |v[10:11]|
	s_cselect_b32 s19, s4, s19
	s_and_b32 vcc_lo, s2, s3
	v_cmp_gt_f64_e64 s3, 0, v[12:13]
	v_cndmask_b32_e32 v15, 0x3ff00000, v13, vcc_lo
	v_cmp_gt_f64_e64 s4, 0, v[10:11]
	s_delay_alu instid0(VALU_DEP_2) | instskip(NEXT) | instid1(VALU_DEP_1)
	v_bfi_b32 v14, 0x7fffffff, v14, v15
	v_cndmask_b32_e64 v15, 0x7ff80000, v14, s2
	s_and_b32 s2, s2, exec_lo
	s_cselect_b32 s2, s19, 0
	s_delay_alu instid0(VALU_DEP_1)
	v_cndmask_b32_e64 v14, v14, v15, s3
	s_and_b32 s3, s3, exec_lo
	s_cselect_b32 s3, s2, s19
	s_xor_b32 s2, s20, s21
	v_cndmask_b32_e32 v15, 0, v13, vcc_lo
	s_and_b32 s2, s2, exec_lo
	s_cselect_b32 s2, 0, 0x7ff00000
	s_and_b32 s19, s22, exec_lo
	v_cmp_class_f64_e64 s19, v[10:11], 0x204
	v_cmp_class_f64_e64 vcc_lo, v[12:13], 0x204
	s_cselect_b32 s2, s2, 0x3ff00000
	s_and_b32 s4, s4, exec_lo
	s_cselect_b32 s4, 0, 0x7ff00000
	s_delay_alu instid0(SALU_CYCLE_1) | instskip(SKIP_3) | instid1(SALU_CYCLE_1)
	v_bfi_b32 v15, 0x7fffffff, s4, v15
	v_cndmask_b32_e64 v14, v14, s2, s19
	v_cmp_o_f64_e64 s2, v[12:13], v[10:11]
	s_or_b32 s4, vcc_lo, s19
	s_and_b32 s4, s4, exec_lo
	v_cndmask_b32_e32 v14, v14, v15, vcc_lo
	s_cselect_b32 s3, 0, s3
	s_delay_alu instid0(VALU_DEP_1) | instskip(SKIP_2) | instid1(SALU_CYCLE_1)
	v_cndmask_b32_e64 v11, 0x7ff80000, v14, s2
	s_and_b32 s2, s2, exec_lo
	s_cselect_b32 s2, s3, 0
	v_mov_b32_e32 v10, s2
	s_delay_alu instid0(VALU_DEP_1)
	v_cmp_ngt_f64_e64 s2, 0x41d00000, |v[10:11]|
	s_and_b32 vcc_lo, exec_lo, s2
	s_cbranch_vccz .LBB3_3
; %bb.2:                                ;   in Loop: Header=BB3_1 Depth=1
	v_ldexp_f64 v[12:13], |v[10:11]|, 0xffffff80
	v_cmp_le_f64_e64 vcc_lo, 0x7b000000, |v[10:11]|
	v_trig_preop_f64 v[14:15], |v[10:11]|, 0
	v_and_b32_e32 v16, 0x7fffffff, v11
	v_trig_preop_f64 v[26:27], |v[10:11]|, 2
	s_delay_alu instid0(VALU_DEP_2) | instskip(SKIP_1) | instid1(VALU_DEP_2)
	v_dual_cndmask_b32 v13, v16, v13 :: v_dual_cndmask_b32 v12, v10, v12
	v_trig_preop_f64 v[16:17], |v[10:11]|, 1
	v_mul_f64_e32 v[18:19], v[14:15], v[12:13]
	s_delay_alu instid0(VALU_DEP_4) | instskip(NEXT) | instid1(VALU_DEP_3)
	v_mul_f64_e32 v[32:33], v[26:27], v[12:13]
	v_mul_f64_e32 v[20:21], v[16:17], v[12:13]
	s_delay_alu instid0(VALU_DEP_3) | instskip(NEXT) | instid1(VALU_DEP_2)
	v_fma_f64 v[14:15], v[14:15], v[12:13], -v[18:19]
	v_fma_f64 v[16:17], v[16:17], v[12:13], -v[20:21]
	s_delay_alu instid0(VALU_DEP_4) | instskip(NEXT) | instid1(VALU_DEP_3)
	v_fma_f64 v[12:13], v[26:27], v[12:13], -v[32:33]
	v_add_f64_e32 v[22:23], v[20:21], v[14:15]
	s_delay_alu instid0(VALU_DEP_1) | instskip(SKIP_1) | instid1(VALU_DEP_2)
	v_add_f64_e64 v[24:25], v[22:23], -v[20:21]
	v_add_f64_e32 v[30:31], v[18:19], v[22:23]
	v_add_f64_e64 v[28:29], v[22:23], -v[24:25]
	v_add_f64_e64 v[14:15], v[14:15], -v[24:25]
	s_delay_alu instid0(VALU_DEP_3) | instskip(NEXT) | instid1(VALU_DEP_3)
	v_ldexp_f64 v[24:25], v[30:31], -2
	v_add_f64_e64 v[20:21], v[20:21], -v[28:29]
	v_add_f64_e32 v[28:29], v[32:33], v[16:17]
	s_delay_alu instid0(VALU_DEP_3) | instskip(NEXT) | instid1(VALU_DEP_3)
	v_cmp_neq_f64_e64 vcc_lo, 0x7ff00000, |v[24:25]|
	v_add_f64_e32 v[14:15], v[14:15], v[20:21]
	v_fract_f64_e32 v[20:21], v[24:25]
	s_delay_alu instid0(VALU_DEP_1) | instskip(NEXT) | instid1(VALU_DEP_1)
	v_ldexp_f64 v[20:21], v[20:21], 2
	v_dual_add_f64 v[18:19], v[30:31], -v[18:19] :: v_dual_cndmask_b32 v20, 0, v20, vcc_lo
	s_delay_alu instid0(VALU_DEP_1) | instskip(SKIP_1) | instid1(VALU_DEP_1)
	v_dual_add_f64 v[18:19], v[22:23], -v[18:19] :: v_dual_cndmask_b32 v21, 0, v21, vcc_lo
	v_add_f64_e32 v[22:23], v[28:29], v[14:15]
	v_add_f64_e32 v[24:25], v[18:19], v[22:23]
	v_add_f64_e64 v[34:35], v[22:23], -v[28:29]
	s_delay_alu instid0(VALU_DEP_2) | instskip(NEXT) | instid1(VALU_DEP_2)
	v_add_f64_e32 v[30:31], v[24:25], v[20:21]
	v_add_f64_e64 v[40:41], v[22:23], -v[34:35]
	v_add_f64_e64 v[14:15], v[14:15], -v[34:35]
	;; [unrolled: 1-line block ×3, first 2 shown]
	s_delay_alu instid0(VALU_DEP_4) | instskip(SKIP_3) | instid1(VALU_DEP_1)
	v_cmp_gt_f64_e32 vcc_lo, 0, v[30:31]
	v_add_f64_e64 v[30:31], v[28:29], -v[32:33]
	s_and_b32 s2, vcc_lo, exec_lo
	s_cselect_b32 s19, 0x40100000, 0
	v_add_f64_e64 v[38:39], v[28:29], -v[30:31]
	v_add_f64_e32 v[20:21], s[18:19], v[20:21]
	v_add_f64_e64 v[16:17], v[16:17], -v[30:31]
	v_add_f64_e64 v[28:29], v[28:29], -v[40:41]
	s_delay_alu instid0(VALU_DEP_4) | instskip(NEXT) | instid1(VALU_DEP_4)
	v_add_f64_e64 v[30:31], v[32:33], -v[38:39]
	v_add_f64_e32 v[36:37], v[24:25], v[20:21]
	s_delay_alu instid0(VALU_DEP_3) | instskip(NEXT) | instid1(VALU_DEP_3)
	v_add_f64_e32 v[14:15], v[14:15], v[28:29]
	v_add_f64_e32 v[16:17], v[16:17], v[30:31]
	s_delay_alu instid0(VALU_DEP_3) | instskip(NEXT) | instid1(VALU_DEP_2)
	v_cvt_i32_f64_e32 v36, v[36:37]
	v_add_f64_e32 v[14:15], v[16:17], v[14:15]
	s_delay_alu instid0(VALU_DEP_2) | instskip(SKIP_1) | instid1(VALU_DEP_3)
	v_cvt_f64_i32_e32 v[34:35], v36
	v_add_f64_e64 v[16:17], v[22:23], -v[18:19]
	v_add_f64_e32 v[12:13], v[12:13], v[14:15]
	s_delay_alu instid0(VALU_DEP_3) | instskip(NEXT) | instid1(VALU_DEP_2)
	v_add_f64_e64 v[20:21], v[20:21], -v[34:35]
	v_add_f64_e32 v[12:13], v[16:17], v[12:13]
	s_delay_alu instid0(VALU_DEP_2) | instskip(NEXT) | instid1(VALU_DEP_1)
	v_add_f64_e32 v[26:27], v[24:25], v[20:21]
	v_add_f64_e64 v[14:15], v[26:27], -v[20:21]
	v_cmp_le_f64_e32 vcc_lo, 0.5, v[26:27]
	s_delay_alu instid0(VALU_DEP_2) | instskip(SKIP_3) | instid1(VALU_DEP_2)
	v_add_f64_e64 v[14:15], v[24:25], -v[14:15]
	s_and_b32 s2, vcc_lo, exec_lo
	s_cselect_b32 s19, 0x3ff00000, 0
	v_add_co_ci_u32_e64 v16, null, 0, v36, vcc_lo
	v_add_f64_e32 v[12:13], v[12:13], v[14:15]
	v_add_f64_e64 v[14:15], v[26:27], -s[18:19]
	s_delay_alu instid0(VALU_DEP_1) | instskip(NEXT) | instid1(VALU_DEP_1)
	v_add_f64_e32 v[18:19], v[14:15], v[12:13]
	v_mul_f64_e32 v[20:21], 0x3ff921fb54442d18, v[18:19]
	v_add_f64_e64 v[14:15], v[18:19], -v[14:15]
	s_delay_alu instid0(VALU_DEP_2) | instskip(NEXT) | instid1(VALU_DEP_2)
	v_fma_f64 v[22:23], v[18:19], s[12:13], -v[20:21]
	v_add_f64_e64 v[12:13], v[12:13], -v[14:15]
	s_delay_alu instid0(VALU_DEP_2) | instskip(NEXT) | instid1(VALU_DEP_1)
	v_fmac_f64_e32 v[22:23], 0x3c91a62633145c07, v[18:19]
	v_fmac_f64_e32 v[22:23], 0x3ff921fb54442d18, v[12:13]
	s_delay_alu instid0(VALU_DEP_1) | instskip(NEXT) | instid1(VALU_DEP_1)
	v_add_f64_e32 v[12:13], v[20:21], v[22:23]
	v_add_f64_e64 v[14:15], v[12:13], -v[20:21]
	s_delay_alu instid0(VALU_DEP_1)
	v_add_f64_e64 v[14:15], v[22:23], -v[14:15]
	s_cbranch_execz .LBB3_4
	s_branch .LBB3_5
.LBB3_3:                                ;   in Loop: Header=BB3_1 Depth=1
                                        ; implicit-def: $vgpr16
                                        ; implicit-def: $vgpr12_vgpr13
                                        ; implicit-def: $vgpr14_vgpr15
.LBB3_4:                                ;   in Loop: Header=BB3_1 Depth=1
	v_mul_f64_e64 v[12:13], |v[10:11]|, s[14:15]
	s_delay_alu instid0(VALU_DEP_1) | instskip(NEXT) | instid1(VALU_DEP_1)
	v_rndne_f64_e32 v[16:17], v[12:13]
	v_fma_f64 v[12:13], v[16:17], s[16:17], |v[10:11]|
	v_mul_f64_e32 v[14:15], 0xbc91a62633145c00, v[16:17]
	s_delay_alu instid0(VALU_DEP_2) | instskip(NEXT) | instid1(VALU_DEP_2)
	v_fmamk_f64 v[22:23], v[16:17], 0xbc91a62633145c00, v[12:13]
	v_add_f64_e32 v[18:19], v[12:13], v[14:15]
	s_delay_alu instid0(VALU_DEP_1) | instskip(NEXT) | instid1(VALU_DEP_3)
	v_add_f64_e64 v[20:21], v[12:13], -v[18:19]
	v_add_f64_e64 v[12:13], v[18:19], -v[22:23]
	s_delay_alu instid0(VALU_DEP_2) | instskip(SKIP_1) | instid1(VALU_DEP_2)
	v_add_f64_e32 v[18:19], v[20:21], v[14:15]
	v_fmamk_f64 v[14:15], v[16:17], 0x3c91a62633145c00, v[14:15]
	v_add_f64_e32 v[12:13], v[12:13], v[18:19]
	s_delay_alu instid0(VALU_DEP_1) | instskip(NEXT) | instid1(VALU_DEP_1)
	v_add_f64_e64 v[14:15], v[12:13], -v[14:15]
	v_fmac_f64_e32 v[14:15], 0xb97b839a252049c0, v[16:17]
	v_cvt_i32_f64_e32 v16, v[16:17]
	s_delay_alu instid0(VALU_DEP_2) | instskip(NEXT) | instid1(VALU_DEP_1)
	v_add_f64_e32 v[12:13], v[22:23], v[14:15]
	v_add_f64_e64 v[18:19], v[12:13], -v[22:23]
	s_delay_alu instid0(VALU_DEP_1)
	v_add_f64_e64 v[14:15], v[14:15], -v[18:19]
.LBB3_5:                                ;   in Loop: Header=BB3_1 Depth=1
	v_cmp_class_f64_e64 s2, v[10:11], 0x1f8
	v_lshlrev_b32_e32 v10, 30, v16
	v_mul_f64_e32 v[18:19], v[12:13], v[12:13]
	s_add_co_i32 s5, s5, -1
	v_and_b32_e32 v17, 1, v16
	s_cmp_eq_u32 s5, 0
	v_xor_b32_e32 v10, v10, v11
	s_delay_alu instid0(VALU_DEP_2) | instskip(SKIP_1) | instid1(VALU_DEP_3)
	v_cmp_eq_u32_e32 vcc_lo, 0, v17
	v_mul_f64_e32 v[24:25], 0.5, v[14:15]
	v_and_b32_e32 v10, 0x80000000, v10
	v_mul_f64_e32 v[20:21], 0.5, v[18:19]
	v_mul_f64_e64 v[26:27], v[12:13], -v[18:19]
	v_fmamk_f64 v[30:31], v[18:19], 0x3de5e0b2f9a43bb8, v[8:9]
	s_delay_alu instid0(VALU_DEP_1) | instskip(NEXT) | instid1(VALU_DEP_1)
	v_fmaak_f64 v[30:31], v[18:19], v[30:31], 0x3ec71de3796cde01
	v_fmaak_f64 v[30:31], v[18:19], v[30:31], 0xbf2a01a019e83e5c
	s_delay_alu instid0(VALU_DEP_1) | instskip(SKIP_1) | instid1(VALU_DEP_2)
	v_fmaak_f64 v[30:31], v[18:19], v[30:31], 0x3f81111111110bb3
	v_add_f64_e64 v[22:23], -v[20:21], 1.0
	v_fmac_f64_e32 v[24:25], v[26:27], v[30:31]
	v_mul_f64_e32 v[30:31], v[18:19], v[18:19]
	s_delay_alu instid0(VALU_DEP_3) | instskip(NEXT) | instid1(VALU_DEP_3)
	v_add_f64_e64 v[28:29], -v[22:23], 1.0
	v_fma_f64 v[24:25], v[18:19], v[24:25], -v[14:15]
	s_delay_alu instid0(VALU_DEP_2) | instskip(SKIP_1) | instid1(VALU_DEP_3)
	v_add_f64_e64 v[20:21], v[28:29], -v[20:21]
	v_fmamk_f64 v[28:29], v[18:19], 0xbda907db46cc5e42, v[6:7]
	v_fmac_f64_e32 v[24:25], 0xbfc5555555555555, v[26:27]
	s_delay_alu instid0(VALU_DEP_3) | instskip(NEXT) | instid1(VALU_DEP_3)
	v_fma_f64 v[14:15], v[12:13], -v[14:15], v[20:21]
	v_fmaak_f64 v[20:21], v[18:19], v[28:29], 0xbe927e4fa17f65f6
	s_delay_alu instid0(VALU_DEP_3) | instskip(NEXT) | instid1(VALU_DEP_2)
	v_add_f64_e64 v[12:13], v[12:13], -v[24:25]
	v_fmaak_f64 v[20:21], v[18:19], v[20:21], 0x3efa01a019f4ec90
	s_delay_alu instid0(VALU_DEP_1) | instskip(NEXT) | instid1(VALU_DEP_1)
	v_fmaak_f64 v[20:21], v[18:19], v[20:21], 0xbf56c16c16c16967
	v_fmaak_f64 v[18:19], v[18:19], v[20:21], 0x3fa5555555555555
	s_delay_alu instid0(VALU_DEP_1) | instskip(NEXT) | instid1(VALU_DEP_1)
	v_fmac_f64_e32 v[14:15], v[30:31], v[18:19]
	v_add_f64_e32 v[14:15], v[22:23], v[14:15]
	s_delay_alu instid0(VALU_DEP_1) | instskip(NEXT) | instid1(VALU_DEP_1)
	v_dual_cndmask_b32 v11, v15, v13 :: v_dual_cndmask_b32 v12, v14, v12
	v_dual_cndmask_b32 v10, 0, v12, s2 :: v_dual_bitop2_b32 v11, v11, v10 bitop3:0x14
	s_delay_alu instid0(VALU_DEP_1) | instskip(NEXT) | instid1(VALU_DEP_1)
	v_cndmask_b32_e64 v11, 0x7ff80000, v11, s2
	v_add_f64_e32 v[4:5], v[4:5], v[10:11]
	s_cbranch_scc1 .LBB3_7
; %bb.6:                                ;   in Loop: Header=BB3_1 Depth=1
	s_delay_alu instid0(VALU_DEP_1)
	v_mov_b64_e32 v[10:11], v[4:5]
	s_branch .LBB3_1
.LBB3_7:
	s_load_b32 s0, s[0:1], 0x0
	s_wait_kmcnt 0x0
	v_cvt_f64_i32_e32 v[0:1], s0
	s_delay_alu instid0(VALU_DEP_1)
	v_cmp_eq_f64_e32 vcc_lo, v[4:5], v[0:1]
	s_cbranch_vccz .LBB3_9
; %bb.8:
	v_mov_b32_e32 v0, 0
	global_store_b64 v0, v[4:5], s[6:7]
.LBB3_9:
	s_endpgm
	.section	.rodata,"a",@progbits
	.p2align	6, 0x0
	.amdhsa_kernel _Z9sgprboundiPd
		.amdhsa_group_segment_fixed_size 0
		.amdhsa_private_segment_fixed_size 0
		.amdhsa_kernarg_size 16
		.amdhsa_user_sgpr_count 2
		.amdhsa_user_sgpr_dispatch_ptr 0
		.amdhsa_user_sgpr_queue_ptr 0
		.amdhsa_user_sgpr_kernarg_segment_ptr 1
		.amdhsa_user_sgpr_dispatch_id 0
		.amdhsa_user_sgpr_kernarg_preload_length 0
		.amdhsa_user_sgpr_kernarg_preload_offset 0
		.amdhsa_user_sgpr_private_segment_size 0
		.amdhsa_wavefront_size32 1
		.amdhsa_uses_dynamic_stack 0
		.amdhsa_enable_private_segment 0
		.amdhsa_system_sgpr_workgroup_id_x 1
		.amdhsa_system_sgpr_workgroup_id_y 0
		.amdhsa_system_sgpr_workgroup_id_z 0
		.amdhsa_system_sgpr_workgroup_info 0
		.amdhsa_system_vgpr_workitem_id 0
		.amdhsa_next_free_vgpr 42
		.amdhsa_next_free_sgpr 23
		.amdhsa_named_barrier_count 0
		.amdhsa_reserve_vcc 1
		.amdhsa_float_round_mode_32 0
		.amdhsa_float_round_mode_16_64 0
		.amdhsa_float_denorm_mode_32 3
		.amdhsa_float_denorm_mode_16_64 3
		.amdhsa_fp16_overflow 0
		.amdhsa_memory_ordered 1
		.amdhsa_forward_progress 1
		.amdhsa_inst_pref_size 24
		.amdhsa_round_robin_scheduling 0
		.amdhsa_exception_fp_ieee_invalid_op 0
		.amdhsa_exception_fp_denorm_src 0
		.amdhsa_exception_fp_ieee_div_zero 0
		.amdhsa_exception_fp_ieee_overflow 0
		.amdhsa_exception_fp_ieee_underflow 0
		.amdhsa_exception_fp_ieee_inexact 0
		.amdhsa_exception_int_div_zero 0
	.end_amdhsa_kernel
	.text
.Lfunc_end3:
	.size	_Z9sgprboundiPd, .Lfunc_end3-_Z9sgprboundiPd
                                        ; -- End function
	.set _Z9sgprboundiPd.num_vgpr, 42
	.set _Z9sgprboundiPd.num_agpr, 0
	.set _Z9sgprboundiPd.numbered_sgpr, 23
	.set _Z9sgprboundiPd.num_named_barrier, 0
	.set _Z9sgprboundiPd.private_seg_size, 0
	.set _Z9sgprboundiPd.uses_vcc, 1
	.set _Z9sgprboundiPd.uses_flat_scratch, 0
	.set _Z9sgprboundiPd.has_dyn_sized_stack, 0
	.set _Z9sgprboundiPd.has_recursion, 0
	.set _Z9sgprboundiPd.has_indirect_call, 0
	.section	.AMDGPU.csdata,"",@progbits
; Kernel info:
; codeLenInByte = 2952
; TotalNumSgprs: 25
; NumVgprs: 42
; ScratchSize: 0
; MemoryBound: 0
; FloatMode: 240
; IeeeMode: 1
; LDSByteSize: 0 bytes/workgroup (compile time only)
; SGPRBlocks: 0
; VGPRBlocks: 2
; NumSGPRsForWavesPerEU: 25
; NumVGPRsForWavesPerEU: 42
; NamedBarCnt: 0
; Occupancy: 16
; WaveLimiterHint : 0
; COMPUTE_PGM_RSRC2:SCRATCH_EN: 0
; COMPUTE_PGM_RSRC2:USER_SGPR: 2
; COMPUTE_PGM_RSRC2:TRAP_HANDLER: 0
; COMPUTE_PGM_RSRC2:TGID_X_EN: 1
; COMPUTE_PGM_RSRC2:TGID_Y_EN: 0
; COMPUTE_PGM_RSRC2:TGID_Z_EN: 0
; COMPUTE_PGM_RSRC2:TIDIG_COMP_CNT: 0
	.text
	.p2alignl 7, 3214868480
	.fill 96, 4, 3214868480
	.section	.AMDGPU.gpr_maximums,"",@progbits
	.set amdgpu.max_num_vgpr, 0
	.set amdgpu.max_num_agpr, 0
	.set amdgpu.max_num_sgpr, 0
	.text
	.type	__hip_cuid_a9f61d6f7da4a070,@object ; @__hip_cuid_a9f61d6f7da4a070
	.section	.bss,"aw",@nobits
	.globl	__hip_cuid_a9f61d6f7da4a070
__hip_cuid_a9f61d6f7da4a070:
	.byte	0                               ; 0x0
	.size	__hip_cuid_a9f61d6f7da4a070, 1

	.ident	"AMD clang version 22.0.0git (https://github.com/RadeonOpenCompute/llvm-project roc-7.2.4 26084 f58b06dce1f9c15707c5f808fd002e18c2accf7e)"
	.section	".note.GNU-stack","",@progbits
	.addrsig
	.addrsig_sym __hip_cuid_a9f61d6f7da4a070
	.amdgpu_metadata
---
amdhsa.kernels:
  - .args:
      - .offset:         0
        .size:           4
        .value_kind:     by_value
      - .address_space:  global
        .offset:         8
        .size:           8
        .value_kind:     global_buffer
    .group_segment_fixed_size: 0
    .kernarg_segment_align: 8
    .kernarg_segment_size: 16
    .language:       OpenCL C
    .language_version:
      - 2
      - 0
    .max_flat_workgroup_size: 1024
    .name:           _Z5emptyiPd
    .private_segment_fixed_size: 0
    .sgpr_count:     0
    .sgpr_spill_count: 0
    .symbol:         _Z5emptyiPd.kd
    .uniform_work_group_size: 1
    .uses_dynamic_stack: false
    .vgpr_count:     0
    .vgpr_spill_count: 0
    .wavefront_size: 32
  - .args:
      - .offset:         0
        .size:           4
        .value_kind:     by_value
      - .address_space:  global
        .offset:         8
        .size:           8
        .value_kind:     global_buffer
    .group_segment_fixed_size: 0
    .kernarg_segment_align: 8
    .kernarg_segment_size: 16
    .language:       OpenCL C
    .language_version:
      - 2
      - 0
    .max_flat_workgroup_size: 256
    .name:           _Z9vgprboundiPd
    .private_segment_fixed_size: 0
    .sgpr_count:     22
    .sgpr_spill_count: 0
    .symbol:         _Z9vgprboundiPd.kd
    .uniform_work_group_size: 1
    .uses_dynamic_stack: false
    .vgpr_count:     78
    .vgpr_spill_count: 0
    .wavefront_size: 32
  - .args:
      - .offset:         0
        .size:           4
        .value_kind:     by_value
      - .address_space:  global
        .offset:         8
        .size:           8
        .value_kind:     global_buffer
      - .offset:         16
        .size:           4
        .value_kind:     hidden_block_count_x
      - .offset:         20
        .size:           4
        .value_kind:     hidden_block_count_y
      - .offset:         24
        .size:           4
        .value_kind:     hidden_block_count_z
      - .offset:         28
        .size:           2
        .value_kind:     hidden_group_size_x
      - .offset:         30
        .size:           2
        .value_kind:     hidden_group_size_y
      - .offset:         32
        .size:           2
        .value_kind:     hidden_group_size_z
      - .offset:         34
        .size:           2
        .value_kind:     hidden_remainder_x
      - .offset:         36
        .size:           2
        .value_kind:     hidden_remainder_y
      - .offset:         38
        .size:           2
        .value_kind:     hidden_remainder_z
      - .offset:         56
        .size:           8
        .value_kind:     hidden_global_offset_x
      - .offset:         64
        .size:           8
        .value_kind:     hidden_global_offset_y
      - .offset:         72
        .size:           8
        .value_kind:     hidden_global_offset_z
      - .offset:         80
        .size:           2
        .value_kind:     hidden_grid_dims
    .group_segment_fixed_size: 65536
    .kernarg_segment_align: 8
    .kernarg_segment_size: 272
    .language:       OpenCL C
    .language_version:
      - 2
      - 0
    .max_flat_workgroup_size: 256
    .name:           _Z8ldsboundiPd
    .private_segment_fixed_size: 0
    .sgpr_count:     21
    .sgpr_spill_count: 0
    .symbol:         _Z8ldsboundiPd.kd
    .uniform_work_group_size: 1
    .uses_dynamic_stack: false
    .vgpr_count:     48
    .vgpr_spill_count: 0
    .wavefront_size: 32
  - .args:
      - .offset:         0
        .size:           4
        .value_kind:     by_value
      - .address_space:  global
        .offset:         8
        .size:           8
        .value_kind:     global_buffer
    .group_segment_fixed_size: 0
    .kernarg_segment_align: 8
    .kernarg_segment_size: 16
    .language:       OpenCL C
    .language_version:
      - 2
      - 0
    .max_flat_workgroup_size: 1024
    .name:           _Z9sgprboundiPd
    .private_segment_fixed_size: 0
    .sgpr_count:     25
    .sgpr_spill_count: 0
    .symbol:         _Z9sgprboundiPd.kd
    .uniform_work_group_size: 1
    .uses_dynamic_stack: false
    .vgpr_count:     42
    .vgpr_spill_count: 0
    .wavefront_size: 32
amdhsa.target:   amdgcn-amd-amdhsa--gfx1250
amdhsa.version:
  - 1
  - 2
...

	.end_amdgpu_metadata
